;; amdgpu-corpus repo=ROCm/rocFFT kind=compiled arch=gfx906 opt=O3
	.text
	.amdgcn_target "amdgcn-amd-amdhsa--gfx906"
	.amdhsa_code_object_version 6
	.protected	bluestein_single_fwd_len375_dim1_dp_op_CI_CI ; -- Begin function bluestein_single_fwd_len375_dim1_dp_op_CI_CI
	.globl	bluestein_single_fwd_len375_dim1_dp_op_CI_CI
	.p2align	8
	.type	bluestein_single_fwd_len375_dim1_dp_op_CI_CI,@function
bluestein_single_fwd_len375_dim1_dp_op_CI_CI: ; @bluestein_single_fwd_len375_dim1_dp_op_CI_CI
; %bb.0:
	v_mul_u32_u24_e32 v1, 0xa3e, v0
	s_mov_b64 s[22:23], s[2:3]
	s_load_dwordx4 s[12:15], s[4:5], 0x28
	v_lshrrev_b32_e32 v1, 16, v1
	s_mov_b64 s[20:21], s[0:1]
	v_mad_u64_u32 v[2:3], s[0:1], s6, 5, v[1:2]
	v_mov_b32_e32 v3, 0
	s_add_u32 s20, s20, s7
	s_waitcnt lgkmcnt(0)
	v_cmp_gt_u64_e32 vcc, s[12:13], v[2:3]
	s_addc_u32 s21, s21, 0
	s_and_saveexec_b64 s[0:1], vcc
	s_cbranch_execz .LBB0_2
; %bb.1:
	s_load_dwordx4 s[8:11], s[4:5], 0x0
	s_load_dwordx4 s[16:19], s[4:5], 0x18
	s_load_dwordx2 s[12:13], s[4:5], 0x38
	s_mov_b32 s0, 0xcccccccd
	v_mul_hi_u32 v3, v2, s0
	v_mul_lo_u16_e32 v1, 25, v1
	s_waitcnt lgkmcnt(0)
	s_load_dwordx4 s[0:3], s[18:19], 0x0
	v_sub_u16_e32 v254, v0, v1
	v_lshrrev_b32_e32 v3, 2, v3
	v_lshl_add_u32 v3, v3, 2, v3
	v_sub_u32_e32 v3, v2, v3
	s_waitcnt lgkmcnt(0)
	v_mad_u64_u32 v[5:6], s[4:5], s2, v2, 0
	v_mul_u32_u24_e32 v9, 0x177, v3
	v_lshlrev_b32_e32 v233, 4, v9
	v_mov_b32_e32 v3, v6
	v_mad_u64_u32 v[3:4], s[2:3], s3, v2, v[3:4]
	v_mov_b32_e32 v15, 0xffffeed0
                                        ; kill: killed $sgpr8_sgpr9
	s_movk_i32 s18, 0x1770
	v_mov_b32_e32 v6, v3
	buffer_store_dword v5, off, s[20:23], 0 offset:48 ; 4-byte Folded Spill
	s_nop 0
	buffer_store_dword v6, off, s[20:23], 0 offset:52 ; 4-byte Folded Spill
	s_load_dwordx4 s[4:7], s[16:17], 0x0
	s_movk_i32 s16, 0xcd
	s_waitcnt lgkmcnt(0)
	v_mad_u64_u32 v[3:4], s[2:3], s6, v2, 0
	v_mad_u64_u32 v[0:1], s[2:3], s4, v254, 0
	s_movk_i32 s6, 0x1000
	v_mad_u64_u32 v[4:5], s[2:3], s7, v2, v[4:5]
	v_mad_u64_u32 v[1:2], s[2:3], s5, v254, v[1:2]
	v_lshlrev_b64 v[2:3], 4, v[3:4]
	v_mov_b32_e32 v4, s15
	v_add_co_u32_e32 v2, vcc, s14, v2
	v_lshlrev_b64 v[0:1], 4, v[0:1]
	v_addc_co_u32_e32 v3, vcc, v4, v3, vcc
	v_add_co_u32_e32 v11, vcc, v2, v0
	v_addc_co_u32_e32 v12, vcc, v3, v1, vcc
	v_lshlrev_b32_e32 v1, 4, v254
	global_load_dwordx4 v[2:5], v[11:12], off
	global_load_dwordx4 v[40:43], v1, s[8:9]
	v_add_co_u32_e32 v213, vcc, s8, v1
	v_mov_b32_e32 v0, s9
	s_mul_i32 s2, s5, 0x4b0
	s_mul_hi_u32 s3, s4, 0x4b0
	v_addc_co_u32_e32 v212, vcc, 0, v0, vcc
	s_add_i32 s2, s3, s2
	s_mul_i32 s3, s4, 0x4b0
	v_add_co_u32_e32 v11, vcc, s3, v11
	v_mov_b32_e32 v0, s2
	v_addc_co_u32_e32 v12, vcc, v12, v0, vcc
	s_mulk_i32 s5, 0xeed0
	s_sub_i32 s5, s5, s4
                                        ; kill: killed $vgpr1
	s_mov_b32 s15, 0xbfee6f0e
	s_waitcnt vmcnt(0)
	v_mul_f64 v[6:7], v[4:5], v[42:43]
	v_fma_f64 v[7:8], v[2:3], v[40:41], v[6:7]
	v_mul_f64 v[2:3], v[2:3], v[42:43]
	v_add_u32_e32 v6, v1, v233
	v_fma_f64 v[9:10], v[4:5], v[40:41], -v[2:3]
	ds_write_b128 v6, v[7:10]
	global_load_dwordx4 v[2:5], v[11:12], off
	global_load_dwordx4 v[44:47], v1, s[8:9] offset:1200
	v_add_co_u32_e32 v11, vcc, s3, v11
	v_addc_co_u32_e32 v12, vcc, v12, v0, vcc
	s_waitcnt vmcnt(0)
	v_mul_f64 v[7:8], v[4:5], v[46:47]
	v_fma_f64 v[7:8], v[2:3], v[44:45], v[7:8]
	v_mul_f64 v[2:3], v[2:3], v[46:47]
	v_fma_f64 v[9:10], v[4:5], v[44:45], -v[2:3]
	ds_write_b128 v6, v[7:10] offset:1200
	global_load_dwordx4 v[2:5], v[11:12], off
	global_load_dwordx4 v[48:51], v1, s[8:9] offset:2400
	v_add_co_u32_e32 v11, vcc, s3, v11
	v_addc_co_u32_e32 v12, vcc, v12, v0, vcc
	s_waitcnt vmcnt(0)
	v_mul_f64 v[7:8], v[4:5], v[50:51]
	v_fma_f64 v[7:8], v[2:3], v[48:49], v[7:8]
	v_mul_f64 v[2:3], v[2:3], v[50:51]
	v_fma_f64 v[9:10], v[4:5], v[48:49], -v[2:3]
	ds_write_b128 v6, v[7:10] offset:2400
	global_load_dwordx4 v[2:5], v[11:12], off
	global_load_dwordx4 v[52:55], v1, s[8:9] offset:3600
	v_add_co_u32_e32 v11, vcc, s3, v11
	v_addc_co_u32_e32 v12, vcc, v12, v0, vcc
	v_add_co_u32_e32 v200, vcc, s6, v213
	v_addc_co_u32_e32 v201, vcc, 0, v212, vcc
	global_load_dwordx4 v[56:59], v[200:201], off offset:704
	v_mov_b32_e32 v0, 0xffffeed0
	v_add_co_u32_e32 v214, vcc, 25, v254
	s_waitcnt vmcnt(1)
	v_mul_f64 v[7:8], v[4:5], v[54:55]
	v_fma_f64 v[7:8], v[2:3], v[52:53], v[7:8]
	v_mul_f64 v[2:3], v[2:3], v[54:55]
	v_fma_f64 v[9:10], v[4:5], v[52:53], -v[2:3]
	global_load_dwordx4 v[2:5], v[11:12], off
	v_mad_u64_u32 v[11:12], s[6:7], s4, v0, v[11:12]
	v_lshlrev_b32_e32 v0, 5, v254
	v_add_u32_e32 v12, s5, v12
	v_add_co_u32_e32 v13, vcc, s3, v11
	ds_write_b128 v6, v[7:10] offset:3600
	s_waitcnt vmcnt(0)
	v_mul_f64 v[7:8], v[4:5], v[58:59]
	v_fma_f64 v[7:8], v[2:3], v[56:57], v[7:8]
	v_mul_f64 v[2:3], v[2:3], v[58:59]
	v_fma_f64 v[9:10], v[4:5], v[56:57], -v[2:3]
	ds_write_b128 v6, v[7:10] offset:4800
	global_load_dwordx4 v[2:5], v[11:12], off
	global_load_dwordx4 v[20:23], v1, s[8:9] offset:400
	s_waitcnt vmcnt(0)
	v_mul_f64 v[7:8], v[4:5], v[22:23]
	v_fma_f64 v[7:8], v[2:3], v[20:21], v[7:8]
	v_mul_f64 v[2:3], v[2:3], v[22:23]
	v_fma_f64 v[9:10], v[4:5], v[20:21], -v[2:3]
	v_mov_b32_e32 v2, s2
	v_addc_co_u32_e32 v14, vcc, v12, v2, vcc
	v_add_co_u32_e32 v12, vcc, s3, v13
	ds_write_b128 v6, v[7:10] offset:400
	global_load_dwordx4 v[2:5], v[13:14], off
	global_load_dwordx4 v[24:27], v1, s[8:9] offset:1600
	s_waitcnt vmcnt(0)
	v_mul_f64 v[7:8], v[4:5], v[26:27]
	v_fma_f64 v[8:9], v[2:3], v[24:25], v[7:8]
	v_mul_f64 v[2:3], v[2:3], v[26:27]
	v_fma_f64 v[10:11], v[4:5], v[24:25], -v[2:3]
	v_mov_b32_e32 v2, s2
	v_addc_co_u32_e32 v13, vcc, v14, v2, vcc
	ds_write_b128 v6, v[8:11] offset:1600
	global_load_dwordx4 v[2:5], v[12:13], off
	global_load_dwordx4 v[28:31], v1, s[8:9] offset:2800
	v_add_co_u32_e32 v12, vcc, s3, v12
	s_waitcnt vmcnt(0)
	v_mul_f64 v[7:8], v[4:5], v[30:31]
	v_fma_f64 v[8:9], v[2:3], v[28:29], v[7:8]
	v_mul_f64 v[2:3], v[2:3], v[30:31]
	v_fma_f64 v[10:11], v[4:5], v[28:29], -v[2:3]
	v_mov_b32_e32 v2, s2
	v_addc_co_u32_e32 v13, vcc, v13, v2, vcc
	ds_write_b128 v6, v[8:11] offset:2800
	global_load_dwordx4 v[2:5], v[12:13], off
	global_load_dwordx4 v[32:35], v1, s[8:9] offset:4000
	v_add_co_u32_e32 v12, vcc, s3, v12
	s_waitcnt vmcnt(0)
	v_mul_f64 v[7:8], v[4:5], v[34:35]
	v_fma_f64 v[8:9], v[2:3], v[32:33], v[7:8]
	v_mul_f64 v[2:3], v[2:3], v[34:35]
	v_fma_f64 v[10:11], v[4:5], v[32:33], -v[2:3]
	v_mov_b32_e32 v2, s2
	v_addc_co_u32_e32 v13, vcc, v13, v2, vcc
	v_mad_u64_u32 v[16:17], s[6:7], s4, v15, v[12:13]
	v_add_co_u32_e32 v215, vcc, 50, v254
	ds_write_b128 v6, v[8:11] offset:4000
	global_load_dwordx4 v[2:5], v[12:13], off
	global_load_dwordx4 v[36:39], v[200:201], off offset:1104
	v_add_u32_e32 v17, s5, v17
	v_add_co_u32_e32 v60, vcc, s3, v16
	s_mov_b32 s4, 0x134454ff
	s_mov_b32 s5, 0x3fee6f0e
	;; [unrolled: 1-line block ×4, first 2 shown]
	s_waitcnt vmcnt(0)
	v_mul_f64 v[7:8], v[4:5], v[38:39]
	v_fma_f64 v[8:9], v[2:3], v[36:37], v[7:8]
	v_mul_f64 v[2:3], v[2:3], v[38:39]
	v_fma_f64 v[10:11], v[4:5], v[36:37], -v[2:3]
	ds_write_b128 v6, v[8:11] offset:5200
	global_load_dwordx4 v[2:5], v[16:17], off
	global_load_dwordx4 v[12:15], v1, s[8:9] offset:800
	s_waitcnt vmcnt(0)
	v_mul_f64 v[7:8], v[4:5], v[14:15]
	v_fma_f64 v[8:9], v[2:3], v[12:13], v[7:8]
	v_mul_f64 v[2:3], v[2:3], v[14:15]
	v_fma_f64 v[10:11], v[4:5], v[12:13], -v[2:3]
	v_mov_b32_e32 v2, s2
	v_addc_co_u32_e32 v61, vcc, v17, v2, vcc
	ds_write_b128 v6, v[8:11] offset:800
	global_load_dwordx4 v[2:5], v[60:61], off
	global_load_dwordx4 v[16:19], v1, s[8:9] offset:2000
	s_waitcnt vmcnt(0)
	v_mul_f64 v[7:8], v[4:5], v[18:19]
	v_fma_f64 v[8:9], v[2:3], v[16:17], v[7:8]
	v_mul_f64 v[2:3], v[2:3], v[18:19]
	v_add_co_u32_e32 v7, vcc, s3, v60
	v_fma_f64 v[10:11], v[4:5], v[16:17], -v[2:3]
	v_mov_b32_e32 v2, s2
	ds_write_b128 v6, v[8:11] offset:2000
	v_addc_co_u32_e32 v8, vcc, v61, v2, vcc
	global_load_dwordx4 v[2:5], v[7:8], off
	global_load_dwordx4 v[62:65], v1, s[8:9] offset:3200
	v_add_co_u32_e32 v7, vcc, s3, v7
	s_mov_b32 s8, 0x4755a5e
	s_mov_b32 s9, 0x3fe2cf23
	;; [unrolled: 1-line block ×3, first 2 shown]
	v_mul_lo_u16_sdwa v11, v214, s16 dst_sel:DWORD dst_unused:UNUSED_PAD src0_sel:BYTE_0 src1_sel:DWORD
	v_lshrrev_b16_e32 v180, 10, v11
	v_mul_lo_u16_e32 v11, 5, v180
	v_sub_u16_e32 v181, v214, v11
	v_mov_b32_e32 v11, 6
	s_waitcnt vmcnt(0)
	buffer_store_dword v62, off, s[20:23], 0 offset:16 ; 4-byte Folded Spill
	s_nop 0
	buffer_store_dword v63, off, s[20:23], 0 offset:20 ; 4-byte Folded Spill
	buffer_store_dword v64, off, s[20:23], 0 offset:24 ; 4-byte Folded Spill
	;; [unrolled: 1-line block ×3, first 2 shown]
	v_mul_f64 v[9:10], v[4:5], v[64:65]
	v_fma_f64 v[60:61], v[2:3], v[62:63], v[9:10]
	v_mul_f64 v[1:2], v[2:3], v[64:65]
	v_fma_f64 v[62:63], v[4:5], v[62:63], -v[1:2]
	v_mov_b32_e32 v1, s2
	v_addc_co_u32_e32 v8, vcc, v8, v1, vcc
	ds_write_b128 v6, v[60:63] offset:3200
	global_load_dwordx4 v[1:4], v[7:8], off
	global_load_dwordx4 v[62:65], v[200:201], off offset:304
	v_add_co_u32_e32 v7, vcc, s3, v7
	s_waitcnt vmcnt(0)
	buffer_store_dword v62, off, s[20:23], 0 ; 4-byte Folded Spill
	s_nop 0
	buffer_store_dword v63, off, s[20:23], 0 offset:4 ; 4-byte Folded Spill
	buffer_store_dword v64, off, s[20:23], 0 offset:8 ; 4-byte Folded Spill
	buffer_store_dword v65, off, s[20:23], 0 offset:12 ; 4-byte Folded Spill
	v_mul_f64 v[9:10], v[3:4], v[64:65]
	v_fma_f64 v[60:61], v[1:2], v[62:63], v[9:10]
	v_mul_f64 v[1:2], v[1:2], v[64:65]
	v_fma_f64 v[62:63], v[3:4], v[62:63], -v[1:2]
	v_mov_b32_e32 v1, s2
	v_addc_co_u32_e32 v8, vcc, v8, v1, vcc
                                        ; kill: killed $vgpr7 killed $vgpr8
	s_mov_b32 s2, 0x372fe950
	s_mov_b32 s3, 0x3fd3c6ef
	ds_write_b128 v6, v[60:63] offset:4400
	global_load_dwordx4 v[1:4], v[7:8], off
	global_load_dwordx4 v[60:63], v[200:201], off offset:1504
	s_waitcnt vmcnt(0)
	v_mov_b32_e32 v65, v63
	v_mov_b32_e32 v64, v62
	v_mul_f64 v[7:8], v[3:4], v[64:65]
	v_mov_b32_e32 v63, v61
	v_mov_b32_e32 v62, v60
	v_fma_f64 v[60:61], v[1:2], v[62:63], v[7:8]
	v_mul_f64 v[1:2], v[1:2], v[64:65]
	buffer_store_dword v62, off, s[20:23], 0 offset:32 ; 4-byte Folded Spill
	s_nop 0
	buffer_store_dword v63, off, s[20:23], 0 offset:36 ; 4-byte Folded Spill
	buffer_store_dword v64, off, s[20:23], 0 offset:40 ; 4-byte Folded Spill
	;; [unrolled: 1-line block ×3, first 2 shown]
	v_fma_f64 v[62:63], v[3:4], v[62:63], -v[1:2]
	ds_write_b128 v6, v[60:63] offset:5600
	s_waitcnt vmcnt(0) lgkmcnt(0)
	s_barrier
	ds_read_b128 v[1:4], v6
	ds_read_b128 v[120:123], v6 offset:1200
	ds_read_b128 v[124:127], v6 offset:2400
	;; [unrolled: 1-line block ×14, first 2 shown]
	s_waitcnt lgkmcnt(13)
	v_add_f64 v[7:8], v[1:2], v[120:121]
	s_waitcnt lgkmcnt(10)
	v_add_f64 v[9:10], v[122:123], -v[134:135]
	v_add_f64 v[86:87], v[126:127], -v[130:131]
	;; [unrolled: 1-line block ×7, first 2 shown]
	v_add_f64 v[7:8], v[7:8], v[124:125]
	s_waitcnt lgkmcnt(0)
	s_barrier
	v_add_f64 v[84:85], v[84:85], v[88:89]
	v_add_f64 v[7:8], v[7:8], v[128:129]
	;; [unrolled: 1-line block ×4, first 2 shown]
	v_fma_f64 v[7:8], v[7:8], -0.5, v[1:2]
	v_fma_f64 v[82:83], v[9:10], s[4:5], v[7:8]
	v_fma_f64 v[7:8], v[9:10], s[14:15], v[7:8]
	;; [unrolled: 1-line block ×6, first 2 shown]
	v_add_f64 v[7:8], v[120:121], v[132:133]
	v_add_f64 v[82:83], v[124:125], -v[120:121]
	v_add_f64 v[124:125], v[116:117], -v[108:109]
	v_fma_f64 v[1:2], v[7:8], -0.5, v[1:2]
	v_add_f64 v[82:83], v[82:83], v[90:91]
	v_add_f64 v[90:91], v[134:135], -v[130:131]
	v_fma_f64 v[7:8], v[86:87], s[14:15], v[1:2]
	v_fma_f64 v[1:2], v[86:87], s[4:5], v[1:2]
	v_add_f64 v[86:87], v[122:123], -v[126:127]
	v_fma_f64 v[7:8], v[9:10], s[8:9], v[7:8]
	v_fma_f64 v[1:2], v[9:10], s[6:7], v[1:2]
	v_add_f64 v[86:87], v[86:87], v[90:91]
	v_fma_f64 v[96:97], v[82:83], s[2:3], v[7:8]
	v_fma_f64 v[92:93], v[82:83], s[2:3], v[1:2]
	v_add_f64 v[1:2], v[3:4], v[122:123]
	v_add_f64 v[7:8], v[120:121], -v[132:133]
	v_add_f64 v[1:2], v[1:2], v[126:127]
	v_add_f64 v[1:2], v[1:2], v[130:131]
	;; [unrolled: 1-line block ×4, first 2 shown]
	v_fma_f64 v[1:2], v[1:2], -0.5, v[3:4]
	v_fma_f64 v[9:10], v[7:8], s[14:15], v[1:2]
	v_fma_f64 v[1:2], v[7:8], s[4:5], v[1:2]
	;; [unrolled: 1-line block ×6, first 2 shown]
	v_add_f64 v[1:2], v[122:123], v[134:135]
	v_add_f64 v[9:10], v[126:127], -v[122:123]
	v_add_f64 v[122:123], v[100:101], -v[104:105]
	v_fma_f64 v[1:2], v[1:2], -0.5, v[3:4]
	v_add_f64 v[9:10], v[9:10], v[98:99]
	v_add_f64 v[122:123], v[122:123], v[124:125]
	v_fma_f64 v[3:4], v[94:95], s[4:5], v[1:2]
	v_fma_f64 v[1:2], v[94:95], s[14:15], v[1:2]
	;; [unrolled: 1-line block ×6, first 2 shown]
	v_add_f64 v[1:2], v[112:113], v[100:101]
	v_add_f64 v[3:4], v[102:103], -v[118:119]
	v_add_f64 v[9:10], v[106:107], -v[110:111]
	v_add_f64 v[1:2], v[1:2], v[104:105]
	v_add_f64 v[1:2], v[1:2], v[108:109]
	;; [unrolled: 1-line block ×4, first 2 shown]
	v_fma_f64 v[1:2], v[1:2], -0.5, v[112:113]
	v_fma_f64 v[7:8], v[3:4], s[4:5], v[1:2]
	v_fma_f64 v[1:2], v[3:4], s[14:15], v[1:2]
	;; [unrolled: 1-line block ×6, first 2 shown]
	v_add_f64 v[1:2], v[100:101], v[116:117]
	v_add_f64 v[122:123], v[108:109], -v[116:117]
	v_fma_f64 v[1:2], v[1:2], -0.5, v[112:113]
	v_add_f64 v[112:113], v[104:105], -v[100:101]
	v_fma_f64 v[7:8], v[9:10], s[14:15], v[1:2]
	v_fma_f64 v[1:2], v[9:10], s[4:5], v[1:2]
	v_add_f64 v[122:123], v[112:113], v[122:123]
	v_add_f64 v[9:10], v[104:105], -v[108:109]
	v_add_f64 v[104:105], v[118:119], -v[110:111]
	v_fma_f64 v[7:8], v[3:4], s[8:9], v[7:8]
	v_fma_f64 v[1:2], v[3:4], s[6:7], v[1:2]
	v_add_f64 v[3:4], v[100:101], -v[116:117]
	v_add_f64 v[100:101], v[102:103], -v[106:107]
	v_fma_f64 v[112:113], v[122:123], s[2:3], v[7:8]
	v_fma_f64 v[132:133], v[122:123], s[2:3], v[1:2]
	v_add_f64 v[1:2], v[114:115], v[102:103]
	v_add_f64 v[100:101], v[100:101], v[104:105]
	v_add_f64 v[104:105], v[72:73], -v[68:69]
	v_add_f64 v[1:2], v[1:2], v[106:107]
	v_add_f64 v[1:2], v[1:2], v[110:111]
	;; [unrolled: 1-line block ×4, first 2 shown]
	v_fma_f64 v[1:2], v[1:2], -0.5, v[114:115]
	v_fma_f64 v[7:8], v[3:4], s[14:15], v[1:2]
	v_fma_f64 v[1:2], v[3:4], s[4:5], v[1:2]
	;; [unrolled: 1-line block ×6, first 2 shown]
	v_add_f64 v[1:2], v[102:103], v[118:119]
	v_add_f64 v[100:101], v[106:107], -v[102:103]
	v_add_f64 v[102:103], v[110:111], -v[118:119]
	v_fma_f64 v[1:2], v[1:2], -0.5, v[114:115]
	v_add_f64 v[100:101], v[100:101], v[102:103]
	v_add_f64 v[102:103], v[60:61], -v[64:65]
	v_fma_f64 v[7:8], v[9:10], s[4:5], v[1:2]
	v_fma_f64 v[1:2], v[9:10], s[14:15], v[1:2]
	v_add_f64 v[9:10], v[66:67], -v[70:71]
	v_add_f64 v[102:103], v[102:103], v[104:105]
	v_fma_f64 v[7:8], v[3:4], s[6:7], v[7:8]
	v_fma_f64 v[1:2], v[3:4], s[8:9], v[1:2]
	v_add_f64 v[3:4], v[62:63], -v[74:75]
	v_fma_f64 v[114:115], v[100:101], s[2:3], v[7:8]
	v_fma_f64 v[134:135], v[100:101], s[2:3], v[1:2]
	v_add_f64 v[1:2], v[76:77], v[60:61]
	v_add_f64 v[1:2], v[1:2], v[64:65]
	;; [unrolled: 1-line block ×5, first 2 shown]
	v_fma_f64 v[1:2], v[1:2], -0.5, v[76:77]
	v_fma_f64 v[7:8], v[3:4], s[4:5], v[1:2]
	v_fma_f64 v[1:2], v[3:4], s[14:15], v[1:2]
	;; [unrolled: 1-line block ×6, first 2 shown]
	v_add_f64 v[1:2], v[60:61], v[72:73]
	v_add_f64 v[102:103], v[68:69], -v[72:73]
	v_fma_f64 v[1:2], v[1:2], -0.5, v[76:77]
	v_add_f64 v[76:77], v[64:65], -v[60:61]
	v_fma_f64 v[7:8], v[9:10], s[14:15], v[1:2]
	v_fma_f64 v[1:2], v[9:10], s[4:5], v[1:2]
	v_add_f64 v[102:103], v[76:77], v[102:103]
	v_add_f64 v[9:10], v[64:65], -v[68:69]
	v_add_f64 v[64:65], v[74:75], -v[70:71]
	v_fma_f64 v[7:8], v[3:4], s[8:9], v[7:8]
	v_fma_f64 v[1:2], v[3:4], s[6:7], v[1:2]
	v_add_f64 v[3:4], v[60:61], -v[72:73]
	v_add_f64 v[60:61], v[62:63], -v[66:67]
	v_fma_f64 v[76:77], v[102:103], s[2:3], v[7:8]
	v_fma_f64 v[116:117], v[102:103], s[2:3], v[1:2]
	v_add_f64 v[1:2], v[78:79], v[62:63]
	v_add_f64 v[60:61], v[60:61], v[64:65]
	;; [unrolled: 1-line block ×6, first 2 shown]
	v_fma_f64 v[1:2], v[1:2], -0.5, v[78:79]
	v_fma_f64 v[7:8], v[3:4], s[14:15], v[1:2]
	v_fma_f64 v[1:2], v[3:4], s[4:5], v[1:2]
	;; [unrolled: 1-line block ×6, first 2 shown]
	v_add_f64 v[1:2], v[62:63], v[74:75]
	v_add_f64 v[60:61], v[66:67], -v[62:63]
	v_add_f64 v[62:63], v[70:71], -v[74:75]
	v_fma_f64 v[1:2], v[1:2], -0.5, v[78:79]
	v_add_f64 v[60:61], v[60:61], v[62:63]
	v_fma_f64 v[7:8], v[9:10], s[4:5], v[1:2]
	v_fma_f64 v[1:2], v[9:10], s[14:15], v[1:2]
	;; [unrolled: 1-line block ×6, first 2 shown]
	v_mul_lo_u16_e32 v1, 5, v254
	v_lshl_add_u32 v8, v1, 4, v233
	v_mul_u32_u24_e32 v1, 5, v214
	v_lshl_add_u32 v7, v1, 4, v233
	v_mul_u32_u24_e32 v1, 5, v215
	v_lshl_add_u32 v4, v1, 4, v233
	v_mul_lo_u16_sdwa v1, v254, s16 dst_sel:DWORD dst_unused:UNUSED_PAD src0_sel:BYTE_0 src1_sel:DWORD
	v_lshrrev_b16_e32 v1, 10, v1
	v_mul_lo_u16_e32 v2, 5, v1
	v_sub_u16_e32 v5, v254, v2
	v_lshlrev_b16_e32 v2, 2, v5
	v_and_b32_e32 v2, 0xfc, v2
	v_lshlrev_b32_e32 v2, 4, v2
	ds_write_b128 v8, v[80:83]
	ds_write_b128 v8, v[88:91] offset:16
	ds_write_b128 v8, v[96:99] offset:32
	ds_write_b128 v8, v[92:95] offset:48
	ds_write_b128 v8, v[84:87] offset:64
	ds_write_b128 v7, v[120:123]
	ds_write_b128 v7, v[128:131] offset:16
	ds_write_b128 v7, v[112:115] offset:32
	ds_write_b128 v7, v[132:135] offset:48
	ds_write_b128 v7, v[124:127] offset:64
	;; [unrolled: 5-line block ×3, first 2 shown]
	s_waitcnt lgkmcnt(0)
	s_barrier
	ds_read_b128 v[118:121], v6
	ds_read_b128 v[72:75], v6 offset:1200
	ds_read_b128 v[76:79], v6 offset:2400
	;; [unrolled: 1-line block ×14, first 2 shown]
	global_load_dwordx4 v[60:63], v2, s[10:11] offset:48
	global_load_dwordx4 v[64:67], v2, s[10:11] offset:32
	;; [unrolled: 1-line block ×3, first 2 shown]
	global_load_dwordx4 v[80:83], v2, s[10:11]
	v_mad_legacy_u16 v1, v1, 25, v5
	v_and_b32_e32 v1, 0xff, v1
	v_lshl_add_u32 v255, v1, 4, v233
	v_mul_u32_u24_e32 v1, 25, v180
	v_add_u32_sdwa v1, v1, v181 dst_sel:DWORD dst_unused:UNUSED_PAD src0_sel:DWORD src1_sel:BYTE_0
	s_waitcnt vmcnt(2) lgkmcnt(11)
	v_mul_f64 v[9:10], v[84:85], v[66:67]
	s_waitcnt vmcnt(0)
	v_mul_f64 v[2:3], v[74:75], v[82:83]
	v_fma_f64 v[140:141], v[86:87], v[64:65], v[9:10]
	s_waitcnt lgkmcnt(10)
	v_mul_f64 v[9:10], v[90:91], v[62:63]
	v_fma_f64 v[146:147], v[72:73], v[80:81], -v[2:3]
	v_mul_f64 v[2:3], v[72:73], v[82:83]
	v_mul_f64 v[72:73], v[88:89], v[62:63]
	v_fma_f64 v[9:10], v[88:89], v[60:61], -v[9:10]
	v_lshlrev_b32_sdwa v88, v11, v181 dst_sel:DWORD dst_unused:UNUSED_PAD src0_sel:DWORD src1_sel:BYTE_0
	v_fma_f64 v[136:137], v[74:75], v[80:81], v[2:3]
	v_mul_f64 v[2:3], v[78:79], v[70:71]
	v_fma_f64 v[142:143], v[90:91], v[60:61], v[72:73]
	v_fma_f64 v[178:179], v[76:77], v[68:69], -v[2:3]
	v_mul_f64 v[2:3], v[76:77], v[70:71]
	v_fma_f64 v[138:139], v[78:79], v[68:69], v[2:3]
	v_mul_f64 v[2:3], v[86:87], v[66:67]
	v_fma_f64 v[2:3], v[84:85], v[64:65], -v[2:3]
	global_load_dwordx4 v[72:75], v88, s[10:11] offset:48
	global_load_dwordx4 v[76:79], v88, s[10:11] offset:32
	global_load_dwordx4 v[84:87], v88, s[10:11] offset:16
	s_nop 0
	global_load_dwordx4 v[88:91], v88, s[10:11]
	v_add_f64 v[134:135], v[2:3], -v[9:10]
	s_waitcnt vmcnt(0) lgkmcnt(8)
	v_mul_f64 v[116:117], v[94:95], v[90:91]
	v_fma_f64 v[144:145], v[92:93], v[88:89], -v[116:117]
	v_mul_f64 v[92:93], v[92:93], v[90:91]
	v_fma_f64 v[158:159], v[94:95], v[88:89], v[92:93]
	s_waitcnt lgkmcnt(7)
	v_mul_f64 v[92:93], v[98:99], v[86:87]
	v_fma_f64 v[148:149], v[96:97], v[84:85], -v[92:93]
	v_mul_f64 v[92:93], v[96:97], v[86:87]
	v_fma_f64 v[160:161], v[98:99], v[84:85], v[92:93]
	s_waitcnt lgkmcnt(6)
	;; [unrolled: 5-line block ×3, first 2 shown]
	v_mul_f64 v[92:93], v[106:107], v[74:75]
	v_fma_f64 v[176:177], v[104:105], v[72:73], -v[92:93]
	v_mul_f64 v[92:93], v[104:105], v[74:75]
	v_fma_f64 v[164:165], v[106:107], v[72:73], v[92:93]
	v_mul_lo_u16_sdwa v92, v215, s16 dst_sel:DWORD dst_unused:UNUSED_PAD src0_sel:BYTE_0 src1_sel:DWORD
	v_lshrrev_b16_e32 v182, 10, v92
	v_mul_lo_u16_e32 v92, 5, v182
	v_sub_u16_e32 v183, v215, v92
	v_lshlrev_b32_sdwa v11, v11, v183 dst_sel:DWORD dst_unused:UNUSED_PAD src0_sel:DWORD src1_sel:BYTE_0
	global_load_dwordx4 v[92:95], v11, s[10:11] offset:48
	global_load_dwordx4 v[96:99], v11, s[10:11] offset:32
	;; [unrolled: 1-line block ×3, first 2 shown]
	global_load_dwordx4 v[104:107], v11, s[10:11]
	s_waitcnt vmcnt(0) lgkmcnt(0)
	s_barrier
	s_mov_b32 s16, 0xe8584caa
	s_mov_b32 s17, 0x3febb67a
	v_mul_f64 v[116:117], v[152:153], v[106:107]
	v_fma_f64 v[166:167], v[150:151], v[104:105], -v[116:117]
	v_mul_f64 v[116:117], v[150:151], v[106:107]
	v_fma_f64 v[150:151], v[152:153], v[104:105], v[116:117]
	v_mul_f64 v[116:117], v[132:133], v[102:103]
	v_fma_f64 v[168:169], v[130:131], v[100:101], -v[116:117]
	v_mul_f64 v[116:117], v[130:131], v[102:103]
	v_add_f64 v[130:131], v[146:147], -v[178:179]
	v_fma_f64 v[152:153], v[132:133], v[100:101], v[116:117]
	v_mul_f64 v[116:117], v[128:129], v[98:99]
	v_add_f64 v[132:133], v[9:10], -v[2:3]
	v_fma_f64 v[170:171], v[126:127], v[96:97], -v[116:117]
	v_mul_f64 v[116:117], v[126:127], v[98:99]
	v_add_f64 v[130:131], v[130:131], v[132:133]
	v_add_f64 v[132:133], v[178:179], -v[146:147]
	v_fma_f64 v[154:155], v[128:129], v[96:97], v[116:117]
	v_mul_f64 v[116:117], v[124:125], v[94:95]
	v_add_f64 v[128:129], v[138:139], -v[140:141]
	v_add_f64 v[132:133], v[132:133], v[134:135]
	v_fma_f64 v[172:173], v[122:123], v[92:93], -v[116:117]
	v_mul_f64 v[116:117], v[122:123], v[94:95]
	v_add_f64 v[122:123], v[178:179], v[2:3]
	v_fma_f64 v[156:157], v[124:125], v[92:93], v[116:117]
	v_fma_f64 v[122:123], v[122:123], -0.5, v[118:119]
	v_add_f64 v[124:125], v[136:137], -v[142:143]
	v_add_f64 v[116:117], v[118:119], v[146:147]
	v_fma_f64 v[126:127], v[124:125], s[4:5], v[122:123]
	v_fma_f64 v[122:123], v[124:125], s[14:15], v[122:123]
	v_add_f64 v[116:117], v[116:117], v[178:179]
	v_fma_f64 v[126:127], v[128:129], s[8:9], v[126:127]
	v_fma_f64 v[122:123], v[128:129], s[6:7], v[122:123]
	v_add_f64 v[116:117], v[116:117], v[2:3]
	v_add_f64 v[2:3], v[178:179], -v[2:3]
	v_add_f64 v[178:179], v[174:175], -v[176:177]
	v_fma_f64 v[126:127], v[130:131], s[2:3], v[126:127]
	v_fma_f64 v[122:123], v[130:131], s[2:3], v[122:123]
	v_add_f64 v[130:131], v[146:147], v[9:10]
	v_add_f64 v[116:117], v[116:117], v[9:10]
	v_add_f64 v[9:10], v[146:147], -v[9:10]
	v_add_f64 v[146:147], v[142:143], -v[140:141]
	v_fma_f64 v[118:119], v[130:131], -0.5, v[118:119]
	v_fma_f64 v[130:131], v[128:129], s[14:15], v[118:119]
	v_fma_f64 v[118:119], v[128:129], s[4:5], v[118:119]
	;; [unrolled: 1-line block ×4, first 2 shown]
	v_add_f64 v[124:125], v[138:139], v[140:141]
	v_fma_f64 v[134:135], v[132:133], s[2:3], v[130:131]
	v_fma_f64 v[130:131], v[132:133], s[2:3], v[118:119]
	v_fma_f64 v[124:125], v[124:125], -0.5, v[120:121]
	v_add_f64 v[132:133], v[136:137], -v[138:139]
	v_add_f64 v[118:119], v[120:121], v[136:137]
	v_fma_f64 v[128:129], v[9:10], s[14:15], v[124:125]
	v_fma_f64 v[124:125], v[9:10], s[4:5], v[124:125]
	v_add_f64 v[132:133], v[132:133], v[146:147]
	v_add_f64 v[118:119], v[118:119], v[138:139]
	v_add_f64 v[146:147], v[176:177], -v[174:175]
	v_fma_f64 v[128:129], v[2:3], s[6:7], v[128:129]
	v_fma_f64 v[124:125], v[2:3], s[8:9], v[124:125]
	v_add_f64 v[118:119], v[118:119], v[140:141]
	v_fma_f64 v[128:129], v[132:133], s[2:3], v[128:129]
	v_fma_f64 v[124:125], v[132:133], s[2:3], v[124:125]
	v_add_f64 v[132:133], v[136:137], v[142:143]
	v_add_f64 v[136:137], v[138:139], -v[136:137]
	v_add_f64 v[138:139], v[140:141], -v[142:143]
	v_add_f64 v[118:119], v[118:119], v[142:143]
	v_add_f64 v[140:141], v[160:161], -v[162:163]
	v_add_f64 v[142:143], v[144:145], -v[148:149]
	v_fma_f64 v[120:121], v[132:133], -0.5, v[120:121]
	v_add_f64 v[138:139], v[136:137], v[138:139]
	v_add_f64 v[142:143], v[142:143], v[146:147]
	v_fma_f64 v[132:133], v[2:3], s[4:5], v[120:121]
	v_fma_f64 v[2:3], v[2:3], s[14:15], v[120:121]
	;; [unrolled: 1-line block ×4, first 2 shown]
	v_add_f64 v[9:10], v[158:159], -v[164:165]
	v_fma_f64 v[136:137], v[138:139], s[2:3], v[132:133]
	v_fma_f64 v[132:133], v[138:139], s[2:3], v[2:3]
	v_add_f64 v[2:3], v[112:113], v[144:145]
	ds_write_b128 v255, v[116:119]
	ds_write_b128 v255, v[126:129] offset:80
	ds_write_b128 v255, v[134:137] offset:160
	;; [unrolled: 1-line block ×4, first 2 shown]
	v_add_f64 v[2:3], v[2:3], v[148:149]
	v_add_f64 v[2:3], v[2:3], v[174:175]
	;; [unrolled: 1-line block ×4, first 2 shown]
	v_add_f64 v[174:175], v[148:149], -v[174:175]
	v_fma_f64 v[2:3], v[2:3], -0.5, v[112:113]
	v_fma_f64 v[120:121], v[9:10], s[4:5], v[2:3]
	v_fma_f64 v[2:3], v[9:10], s[14:15], v[2:3]
	;; [unrolled: 1-line block ×6, first 2 shown]
	v_add_f64 v[2:3], v[144:145], v[176:177]
	v_add_f64 v[120:121], v[148:149], -v[144:145]
	v_add_f64 v[148:149], v[164:165], -v[162:163]
	v_fma_f64 v[2:3], v[2:3], -0.5, v[112:113]
	v_add_f64 v[120:121], v[120:121], v[178:179]
	v_fma_f64 v[112:113], v[140:141], s[14:15], v[2:3]
	v_fma_f64 v[2:3], v[140:141], s[4:5], v[2:3]
	;; [unrolled: 1-line block ×4, first 2 shown]
	v_add_f64 v[9:10], v[144:145], -v[176:177]
	v_add_f64 v[144:145], v[158:159], -v[160:161]
	v_fma_f64 v[112:113], v[120:121], s[2:3], v[112:113]
	v_fma_f64 v[184:185], v[120:121], s[2:3], v[2:3]
	v_add_f64 v[2:3], v[114:115], v[158:159]
	v_add_f64 v[144:145], v[144:145], v[148:149]
	v_add_f64 v[2:3], v[2:3], v[160:161]
	v_add_f64 v[2:3], v[2:3], v[162:163]
	v_add_f64 v[140:141], v[2:3], v[164:165]
	v_add_f64 v[2:3], v[160:161], v[162:163]
	v_fma_f64 v[2:3], v[2:3], -0.5, v[114:115]
	v_fma_f64 v[120:121], v[9:10], s[14:15], v[2:3]
	v_fma_f64 v[2:3], v[9:10], s[4:5], v[2:3]
	;; [unrolled: 1-line block ×6, first 2 shown]
	v_add_f64 v[2:3], v[158:159], v[164:165]
	v_add_f64 v[120:121], v[160:161], -v[158:159]
	v_add_f64 v[158:159], v[162:163], -v[164:165]
	;; [unrolled: 1-line block ×5, first 2 shown]
	v_fma_f64 v[2:3], v[2:3], -0.5, v[114:115]
	v_add_f64 v[120:121], v[120:121], v[158:159]
	v_add_f64 v[164:165], v[162:163], v[164:165]
	v_fma_f64 v[114:115], v[174:175], s[4:5], v[2:3]
	v_fma_f64 v[2:3], v[174:175], s[14:15], v[2:3]
	;; [unrolled: 1-line block ×4, first 2 shown]
	v_add_f64 v[9:10], v[150:151], -v[156:157]
	v_fma_f64 v[114:115], v[120:121], s[2:3], v[114:115]
	v_fma_f64 v[186:187], v[120:121], s[2:3], v[2:3]
	v_add_f64 v[2:3], v[108:109], v[166:167]
	v_add_f64 v[2:3], v[2:3], v[168:169]
	;; [unrolled: 1-line block ×5, first 2 shown]
	v_fma_f64 v[2:3], v[2:3], -0.5, v[108:109]
	v_fma_f64 v[120:121], v[9:10], s[4:5], v[2:3]
	v_fma_f64 v[2:3], v[9:10], s[14:15], v[2:3]
	;; [unrolled: 1-line block ×6, first 2 shown]
	v_add_f64 v[2:3], v[166:167], v[172:173]
	v_add_f64 v[120:121], v[168:169], -v[166:167]
	v_add_f64 v[164:165], v[170:171], -v[172:173]
	v_fma_f64 v[2:3], v[2:3], -0.5, v[108:109]
	v_add_f64 v[120:121], v[120:121], v[164:165]
	v_add_f64 v[164:165], v[150:151], -v[152:153]
	v_fma_f64 v[108:109], v[160:161], s[14:15], v[2:3]
	v_fma_f64 v[2:3], v[160:161], s[4:5], v[2:3]
	;; [unrolled: 1-line block ×4, first 2 shown]
	v_add_f64 v[9:10], v[166:167], -v[172:173]
	v_add_f64 v[166:167], v[168:169], -v[170:171]
	;; [unrolled: 1-line block ×3, first 2 shown]
	v_fma_f64 v[108:109], v[120:121], s[2:3], v[108:109]
	v_fma_f64 v[188:189], v[120:121], s[2:3], v[2:3]
	v_add_f64 v[2:3], v[110:111], v[150:151]
	v_add_f64 v[168:169], v[164:165], v[168:169]
	;; [unrolled: 1-line block ×6, first 2 shown]
	v_fma_f64 v[2:3], v[2:3], -0.5, v[110:111]
	v_fma_f64 v[120:121], v[9:10], s[14:15], v[2:3]
	v_fma_f64 v[2:3], v[9:10], s[4:5], v[2:3]
	;; [unrolled: 1-line block ×6, first 2 shown]
	v_add_f64 v[2:3], v[150:151], v[156:157]
	v_add_f64 v[120:121], v[152:153], -v[150:151]
	v_add_f64 v[150:151], v[154:155], -v[156:157]
	v_fma_f64 v[2:3], v[2:3], -0.5, v[110:111]
	v_add_f64 v[120:121], v[120:121], v[150:151]
	v_fma_f64 v[110:111], v[166:167], s[4:5], v[2:3]
	v_fma_f64 v[2:3], v[166:167], s[14:15], v[2:3]
	;; [unrolled: 1-line block ×4, first 2 shown]
	v_lshl_add_u32 v9, v1, 4, v233
	v_mul_u32_u24_e32 v1, 25, v182
	v_add_u32_sdwa v1, v1, v183 dst_sel:DWORD dst_unused:UNUSED_PAD src0_sel:DWORD src1_sel:BYTE_0
	v_lshl_add_u32 v5, v1, 4, v233
	v_lshlrev_b32_e32 v1, 6, v254
	ds_write_b128 v9, v[138:141]
	ds_write_b128 v9, v[146:149] offset:80
	ds_write_b128 v9, v[112:115] offset:160
	ds_write_b128 v9, v[184:187] offset:240
	ds_write_b128 v9, v[142:145] offset:320
	v_fma_f64 v[110:111], v[120:121], s[2:3], v[110:111]
	v_fma_f64 v[190:191], v[120:121], s[2:3], v[2:3]
	ds_write_b128 v5, v[158:161]
	ds_write_b128 v5, v[162:165] offset:80
	ds_write_b128 v5, v[108:111] offset:160
	;; [unrolled: 1-line block ×4, first 2 shown]
	s_waitcnt lgkmcnt(0)
	s_barrier
	ds_read_b128 v[158:161], v6
	ds_read_b128 v[128:131], v6 offset:1200
	ds_read_b128 v[132:135], v6 offset:2400
	ds_read_b128 v[136:139], v6 offset:3600
	ds_read_b128 v[140:143], v6 offset:4800
	ds_read_b128 v[144:147], v6 offset:400
	ds_read_b128 v[148:151], v6 offset:1600
	ds_read_b128 v[152:155], v6 offset:2800
	ds_read_b128 v[182:185], v6 offset:4000
	ds_read_b128 v[206:209], v6 offset:5200
	ds_read_b128 v[124:127], v6 offset:800
	ds_read_b128 v[217:220], v6 offset:2000
	ds_read_b128 v[221:224], v6 offset:3200
	ds_read_b128 v[225:228], v6 offset:4400
	ds_read_b128 v[229:232], v6 offset:5600
	global_load_dwordx4 v[108:111], v1, s[10:11] offset:368
	global_load_dwordx4 v[112:115], v1, s[10:11] offset:352
	;; [unrolled: 1-line block ×4, first 2 shown]
	v_mov_b32_e32 v3, 41
	v_mul_lo_u16_sdwa v3, v215, v3 dst_sel:DWORD dst_unused:UNUSED_PAD src0_sel:BYTE_0 src1_sel:DWORD
	v_lshrrev_b16_e32 v3, 10, v3
	v_mul_lo_u16_e32 v3, 25, v3
	v_sub_u16_e32 v3, v215, v3
	v_and_b32_e32 v216, 0xff, v3
	v_lshlrev_b32_e32 v3, 6, v216
	s_waitcnt vmcnt(0) lgkmcnt(13)
	v_mul_f64 v[1:2], v[130:131], v[122:123]
	v_mul_f64 v[10:11], v[128:129], v[122:123]
	v_fma_f64 v[1:2], v[128:129], v[120:121], -v[1:2]
	s_waitcnt lgkmcnt(12)
	v_mul_f64 v[128:129], v[132:133], v[118:119]
	v_fma_f64 v[164:165], v[130:131], v[120:121], v[10:11]
	v_mul_f64 v[10:11], v[134:135], v[118:119]
	v_fma_f64 v[168:169], v[134:135], v[116:117], v[128:129]
	s_waitcnt lgkmcnt(11)
	v_mul_f64 v[128:129], v[138:139], v[114:115]
	v_fma_f64 v[10:11], v[132:133], v[116:117], -v[10:11]
	v_fma_f64 v[174:175], v[136:137], v[112:113], -v[128:129]
	v_mul_f64 v[128:129], v[136:137], v[114:115]
	v_add_f64 v[156:157], v[1:2], -v[10:11]
	v_fma_f64 v[170:171], v[138:139], v[112:113], v[128:129]
	s_waitcnt lgkmcnt(10)
	v_mul_f64 v[128:129], v[142:143], v[110:111]
	v_add_f64 v[162:163], v[168:169], -v[170:171]
	v_fma_f64 v[178:179], v[140:141], v[108:109], -v[128:129]
	v_mul_f64 v[128:129], v[140:141], v[110:111]
	v_add_f64 v[166:167], v[178:179], -v[174:175]
	v_fma_f64 v[172:173], v[142:143], v[108:109], v[128:129]
	s_waitcnt lgkmcnt(8)
	v_mul_f64 v[128:129], v[150:151], v[122:123]
	v_add_f64 v[166:167], v[156:157], v[166:167]
	v_fma_f64 v[176:177], v[148:149], v[120:121], -v[128:129]
	v_mul_f64 v[128:129], v[148:149], v[122:123]
	v_fma_f64 v[188:189], v[150:151], v[120:121], v[128:129]
	s_waitcnt lgkmcnt(7)
	v_mul_f64 v[128:129], v[154:155], v[118:119]
	v_add_f64 v[150:151], v[10:11], v[174:175]
	v_fma_f64 v[180:181], v[152:153], v[116:117], -v[128:129]
	v_mul_f64 v[128:129], v[152:153], v[118:119]
	v_fma_f64 v[150:151], v[150:151], -0.5, v[158:159]
	v_fma_f64 v[192:193], v[154:155], v[116:117], v[128:129]
	s_waitcnt lgkmcnt(6)
	v_mul_f64 v[128:129], v[184:185], v[114:115]
	v_add_f64 v[154:155], v[164:165], -v[172:173]
	v_fma_f64 v[198:199], v[182:183], v[112:113], -v[128:129]
	v_mul_f64 v[128:129], v[182:183], v[114:115]
	v_fma_f64 v[152:153], v[154:155], s[4:5], v[150:151]
	v_fma_f64 v[150:151], v[154:155], s[14:15], v[150:151]
	;; [unrolled: 1-line block ×3, first 2 shown]
	s_waitcnt lgkmcnt(5)
	v_mul_f64 v[128:129], v[208:209], v[110:111]
	v_fma_f64 v[152:153], v[162:163], s[8:9], v[152:153]
	v_fma_f64 v[150:151], v[162:163], s[6:7], v[150:151]
	v_fma_f64 v[204:205], v[206:207], v[108:109], -v[128:129]
	v_mul_f64 v[128:129], v[206:207], v[110:111]
	v_fma_f64 v[156:157], v[166:167], s[2:3], v[152:153]
	v_fma_f64 v[152:153], v[166:167], s[2:3], v[150:151]
	v_add_f64 v[150:151], v[1:2], v[178:179]
	v_add_f64 v[166:167], v[10:11], -v[1:2]
	v_fma_f64 v[196:197], v[208:209], v[108:109], v[128:129]
	global_load_dwordx4 v[128:131], v3, s[10:11] offset:368
	global_load_dwordx4 v[132:135], v3, s[10:11] offset:352
	;; [unrolled: 1-line block ×4, first 2 shown]
	s_waitcnt lgkmcnt(0)
	v_fma_f64 v[150:151], v[150:151], -0.5, v[158:159]
	s_waitcnt vmcnt(0)
	s_barrier
	v_lshlrev_b32_e32 v3, 5, v214
	v_mul_f64 v[148:149], v[219:220], v[142:143]
	v_fma_f64 v[202:203], v[217:218], v[140:141], -v[148:149]
	v_mul_f64 v[148:149], v[217:218], v[142:143]
	v_add_f64 v[217:218], v[174:175], -v[178:179]
	v_fma_f64 v[182:183], v[219:220], v[140:141], v[148:149]
	v_mul_f64 v[148:149], v[223:224], v[138:139]
	v_add_f64 v[217:218], v[166:167], v[217:218]
	v_fma_f64 v[206:207], v[221:222], v[136:137], -v[148:149]
	v_mul_f64 v[148:149], v[221:222], v[138:139]
	v_fma_f64 v[184:185], v[223:224], v[136:137], v[148:149]
	v_mul_f64 v[148:149], v[227:228], v[134:135]
	v_fma_f64 v[208:209], v[225:226], v[132:133], -v[148:149]
	v_mul_f64 v[148:149], v[225:226], v[134:135]
	v_fma_f64 v[186:187], v[227:228], v[132:133], v[148:149]
	v_mul_f64 v[148:149], v[231:232], v[130:131]
	v_fma_f64 v[210:211], v[229:230], v[128:129], -v[148:149]
	v_mul_f64 v[148:149], v[229:230], v[130:131]
	v_fma_f64 v[190:191], v[231:232], v[128:129], v[148:149]
	v_add_f64 v[148:149], v[158:159], v[1:2]
	v_fma_f64 v[158:159], v[162:163], s[14:15], v[150:151]
	v_fma_f64 v[150:151], v[162:163], s[4:5], v[150:151]
	v_add_f64 v[1:2], v[1:2], -v[178:179]
	v_add_f64 v[148:149], v[148:149], v[10:11]
	v_fma_f64 v[158:159], v[154:155], s[8:9], v[158:159]
	v_fma_f64 v[150:151], v[154:155], s[6:7], v[150:151]
	v_add_f64 v[154:155], v[168:169], v[170:171]
	v_add_f64 v[10:11], v[10:11], -v[174:175]
	v_add_f64 v[148:149], v[148:149], v[174:175]
	v_fma_f64 v[166:167], v[217:218], s[2:3], v[158:159]
	v_add_f64 v[174:175], v[164:165], -v[168:169]
	v_fma_f64 v[154:155], v[154:155], -0.5, v[160:161]
	v_fma_f64 v[162:163], v[217:218], s[2:3], v[150:151]
	v_add_f64 v[150:151], v[160:161], v[164:165]
	v_add_f64 v[217:218], v[198:199], -v[204:205]
	v_add_f64 v[148:149], v[148:149], v[178:179]
	v_add_f64 v[178:179], v[172:173], -v[170:171]
	v_fma_f64 v[158:159], v[1:2], s[14:15], v[154:155]
	v_fma_f64 v[154:155], v[1:2], s[4:5], v[154:155]
	v_add_f64 v[150:151], v[150:151], v[168:169]
	v_add_f64 v[174:175], v[174:175], v[178:179]
	v_add_f64 v[178:179], v[204:205], -v[198:199]
	v_fma_f64 v[158:159], v[10:11], s[6:7], v[158:159]
	v_fma_f64 v[154:155], v[10:11], s[8:9], v[154:155]
	v_add_f64 v[150:151], v[150:151], v[170:171]
	v_fma_f64 v[158:159], v[174:175], s[2:3], v[158:159]
	v_fma_f64 v[154:155], v[174:175], s[2:3], v[154:155]
	v_add_f64 v[174:175], v[164:165], v[172:173]
	v_add_f64 v[164:165], v[168:169], -v[164:165]
	v_add_f64 v[168:169], v[170:171], -v[172:173]
	v_add_f64 v[150:151], v[150:151], v[172:173]
	v_add_f64 v[172:173], v[192:193], -v[194:195]
	v_fma_f64 v[160:161], v[174:175], -0.5, v[160:161]
	v_add_f64 v[164:165], v[164:165], v[168:169]
	v_fma_f64 v[174:175], v[10:11], s[4:5], v[160:161]
	v_fma_f64 v[10:11], v[10:11], s[14:15], v[160:161]
	;; [unrolled: 1-line block ×4, first 2 shown]
	v_add_f64 v[10:11], v[188:189], -v[196:197]
	v_fma_f64 v[168:169], v[164:165], s[2:3], v[174:175]
	v_fma_f64 v[164:165], v[164:165], s[2:3], v[1:2]
	v_add_f64 v[1:2], v[144:145], v[176:177]
	v_add_f64 v[174:175], v[176:177], -v[180:181]
	v_add_f64 v[1:2], v[1:2], v[180:181]
	v_add_f64 v[174:175], v[174:175], v[178:179]
	;; [unrolled: 1-line block ×5, first 2 shown]
	v_add_f64 v[198:199], v[180:181], -v[198:199]
	v_fma_f64 v[1:2], v[1:2], -0.5, v[144:145]
	v_fma_f64 v[160:161], v[10:11], s[4:5], v[1:2]
	v_fma_f64 v[1:2], v[10:11], s[14:15], v[1:2]
	v_fma_f64 v[160:161], v[172:173], s[8:9], v[160:161]
	v_fma_f64 v[1:2], v[172:173], s[6:7], v[1:2]
	v_fma_f64 v[178:179], v[174:175], s[2:3], v[160:161]
	v_fma_f64 v[174:175], v[174:175], s[2:3], v[1:2]
	v_add_f64 v[1:2], v[176:177], v[204:205]
	v_add_f64 v[160:161], v[180:181], -v[176:177]
	v_add_f64 v[180:181], v[196:197], -v[194:195]
	v_fma_f64 v[1:2], v[1:2], -0.5, v[144:145]
	v_add_f64 v[160:161], v[160:161], v[217:218]
	v_fma_f64 v[144:145], v[172:173], s[14:15], v[1:2]
	v_fma_f64 v[1:2], v[172:173], s[4:5], v[1:2]
	;; [unrolled: 1-line block ×4, first 2 shown]
	v_add_f64 v[10:11], v[176:177], -v[204:205]
	v_add_f64 v[176:177], v[188:189], -v[192:193]
	v_fma_f64 v[144:145], v[160:161], s[2:3], v[144:145]
	v_fma_f64 v[217:218], v[160:161], s[2:3], v[1:2]
	v_add_f64 v[1:2], v[146:147], v[188:189]
	v_add_f64 v[176:177], v[176:177], v[180:181]
	;; [unrolled: 1-line block ×6, first 2 shown]
	v_fma_f64 v[1:2], v[1:2], -0.5, v[146:147]
	v_fma_f64 v[160:161], v[10:11], s[14:15], v[1:2]
	v_fma_f64 v[1:2], v[10:11], s[4:5], v[1:2]
	;; [unrolled: 1-line block ×6, first 2 shown]
	v_add_f64 v[1:2], v[188:189], v[196:197]
	v_add_f64 v[160:161], v[192:193], -v[188:189]
	v_add_f64 v[188:189], v[194:195], -v[196:197]
	;; [unrolled: 1-line block ×4, first 2 shown]
	v_fma_f64 v[1:2], v[1:2], -0.5, v[146:147]
	v_add_f64 v[160:161], v[160:161], v[188:189]
	v_add_f64 v[188:189], v[184:185], -v[186:187]
	v_add_f64 v[194:195], v[194:195], v[196:197]
	v_fma_f64 v[146:147], v[198:199], s[4:5], v[1:2]
	v_fma_f64 v[1:2], v[198:199], s[14:15], v[1:2]
	v_add_f64 v[198:199], v[182:183], -v[184:185]
	v_fma_f64 v[146:147], v[10:11], s[6:7], v[146:147]
	v_fma_f64 v[1:2], v[10:11], s[8:9], v[1:2]
	v_add_f64 v[10:11], v[182:183], -v[190:191]
	v_fma_f64 v[146:147], v[160:161], s[2:3], v[146:147]
	v_fma_f64 v[219:220], v[160:161], s[2:3], v[1:2]
	v_add_f64 v[1:2], v[124:125], v[202:203]
	ds_write_b128 v6, v[148:151]
	ds_write_b128 v6, v[156:159] offset:400
	ds_write_b128 v6, v[166:169] offset:800
	;; [unrolled: 1-line block ×9, first 2 shown]
	v_add_f64 v[1:2], v[1:2], v[206:207]
	v_add_f64 v[1:2], v[1:2], v[208:209]
	;; [unrolled: 1-line block ×4, first 2 shown]
	v_fma_f64 v[1:2], v[1:2], -0.5, v[124:125]
	v_fma_f64 v[160:161], v[10:11], s[4:5], v[1:2]
	v_fma_f64 v[1:2], v[10:11], s[14:15], v[1:2]
	;; [unrolled: 1-line block ×6, first 2 shown]
	v_add_f64 v[1:2], v[202:203], v[210:211]
	v_add_f64 v[160:161], v[206:207], -v[202:203]
	v_add_f64 v[194:195], v[208:209], -v[210:211]
	v_fma_f64 v[1:2], v[1:2], -0.5, v[124:125]
	v_add_f64 v[160:161], v[160:161], v[194:195]
	v_fma_f64 v[124:125], v[188:189], s[14:15], v[1:2]
	v_fma_f64 v[1:2], v[188:189], s[4:5], v[1:2]
	;; [unrolled: 1-line block ×4, first 2 shown]
	v_add_f64 v[10:11], v[202:203], -v[210:211]
	v_add_f64 v[202:203], v[206:207], -v[208:209]
	v_add_f64 v[206:207], v[190:191], -v[186:187]
	v_fma_f64 v[124:125], v[160:161], s[2:3], v[124:125]
	v_fma_f64 v[188:189], v[160:161], s[2:3], v[1:2]
	v_add_f64 v[1:2], v[126:127], v[182:183]
	v_add_f64 v[206:207], v[198:199], v[206:207]
	v_add_f64 v[1:2], v[1:2], v[184:185]
	v_add_f64 v[1:2], v[1:2], v[186:187]
	v_add_f64 v[194:195], v[1:2], v[190:191]
	v_add_f64 v[1:2], v[184:185], v[186:187]
	v_fma_f64 v[1:2], v[1:2], -0.5, v[126:127]
	v_fma_f64 v[160:161], v[10:11], s[14:15], v[1:2]
	v_fma_f64 v[1:2], v[10:11], s[4:5], v[1:2]
	;; [unrolled: 1-line block ×6, first 2 shown]
	v_add_f64 v[1:2], v[182:183], v[190:191]
	v_add_f64 v[160:161], v[184:185], -v[182:183]
	v_add_f64 v[182:183], v[186:187], -v[190:191]
	v_fma_f64 v[1:2], v[1:2], -0.5, v[126:127]
	v_add_f64 v[160:161], v[160:161], v[182:183]
	v_fma_f64 v[126:127], v[202:203], s[4:5], v[1:2]
	v_fma_f64 v[1:2], v[202:203], s[14:15], v[1:2]
	v_fma_f64 v[126:127], v[10:11], s[6:7], v[126:127]
	v_fma_f64 v[1:2], v[10:11], s[8:9], v[1:2]
	v_lshl_add_u32 v10, v216, 4, v233
	v_mov_b32_e32 v11, 0xffffeed0
	v_fma_f64 v[126:127], v[160:161], s[2:3], v[126:127]
	v_fma_f64 v[190:191], v[160:161], s[2:3], v[1:2]
	ds_write_b128 v10, v[192:195] offset:4000
	ds_write_b128 v10, v[196:199] offset:4400
	;; [unrolled: 1-line block ×5, first 2 shown]
	s_waitcnt lgkmcnt(0)
	s_barrier
	ds_read_b128 v[196:199], v6
	ds_read_b128 v[148:151], v6 offset:2000
	ds_read_b128 v[152:155], v6 offset:4000
	;; [unrolled: 1-line block ×14, first 2 shown]
	global_load_dwordx4 v[124:127], v0, s[10:11] offset:1936
	global_load_dwordx4 v[144:147], v0, s[10:11] offset:1920
	s_waitcnt vmcnt(0) lgkmcnt(13)
	v_mul_f64 v[1:2], v[150:151], v[146:147]
	v_fma_f64 v[1:2], v[148:149], v[144:145], -v[1:2]
	v_mul_f64 v[148:149], v[148:149], v[146:147]
	v_fma_f64 v[210:211], v[150:151], v[144:145], v[148:149]
	s_waitcnt lgkmcnt(12)
	v_mul_f64 v[148:149], v[154:155], v[126:127]
	v_fma_f64 v[216:217], v[152:153], v[124:125], -v[148:149]
	v_mul_f64 v[148:149], v[152:153], v[126:127]
	v_fma_f64 v[218:219], v[154:155], v[124:125], v[148:149]
	global_load_dwordx4 v[148:151], v3, s[10:11] offset:1936
	global_load_dwordx4 v[152:155], v3, s[10:11] offset:1920
	v_lshlrev_b32_e32 v3, 5, v215
	s_waitcnt vmcnt(0) lgkmcnt(10)
	v_mul_f64 v[220:221], v[158:159], v[154:155]
	v_fma_f64 v[220:221], v[156:157], v[152:153], -v[220:221]
	v_mul_f64 v[156:157], v[156:157], v[154:155]
	v_fma_f64 v[222:223], v[158:159], v[152:153], v[156:157]
	s_waitcnt lgkmcnt(9)
	v_mul_f64 v[156:157], v[162:163], v[150:151]
	v_fma_f64 v[224:225], v[160:161], v[148:149], -v[156:157]
	v_mul_f64 v[156:157], v[160:161], v[150:151]
	v_fma_f64 v[226:227], v[162:163], v[148:149], v[156:157]
	global_load_dwordx4 v[156:159], v3, s[10:11] offset:1936
	global_load_dwordx4 v[160:163], v3, s[10:11] offset:1920
	v_add_u32_e32 v3, 0x960, v0
	v_add_u32_e32 v0, 0xc80, v0
	s_waitcnt vmcnt(0) lgkmcnt(7)
	v_mul_f64 v[214:215], v[166:167], v[162:163]
	v_fma_f64 v[228:229], v[164:165], v[160:161], -v[214:215]
	v_mul_f64 v[164:165], v[164:165], v[162:163]
	v_fma_f64 v[230:231], v[166:167], v[160:161], v[164:165]
	s_waitcnt lgkmcnt(6)
	v_mul_f64 v[164:165], v[170:171], v[158:159]
	v_fma_f64 v[232:233], v[168:169], v[156:157], -v[164:165]
	v_mul_f64 v[164:165], v[168:169], v[158:159]
	v_fma_f64 v[234:235], v[170:171], v[156:157], v[164:165]
	global_load_dwordx4 v[164:167], v3, s[10:11] offset:1936
	global_load_dwordx4 v[168:171], v3, s[10:11] offset:1920
	s_waitcnt vmcnt(0) lgkmcnt(4)
	v_mul_f64 v[214:215], v[174:175], v[170:171]
	v_fma_f64 v[236:237], v[172:173], v[168:169], -v[214:215]
	v_mul_f64 v[172:173], v[172:173], v[170:171]
	v_fma_f64 v[238:239], v[174:175], v[168:169], v[172:173]
	s_waitcnt lgkmcnt(3)
	v_mul_f64 v[172:173], v[178:179], v[166:167]
	v_fma_f64 v[240:241], v[176:177], v[164:165], -v[172:173]
	v_mul_f64 v[172:173], v[176:177], v[166:167]
	v_fma_f64 v[242:243], v[178:179], v[164:165], v[172:173]
	global_load_dwordx4 v[172:175], v0, s[10:11] offset:1936
	global_load_dwordx4 v[176:179], v0, s[10:11] offset:1920
	s_mov_b32 s11, 0xbfebb67a
	s_mov_b32 s10, s16
	s_waitcnt vmcnt(0) lgkmcnt(1)
	v_mul_f64 v[214:215], v[204:205], v[178:179]
	v_fma_f64 v[244:245], v[202:203], v[176:177], -v[214:215]
	v_mul_f64 v[202:203], v[202:203], v[178:179]
	v_fma_f64 v[246:247], v[204:205], v[176:177], v[202:203]
	s_waitcnt lgkmcnt(0)
	v_mul_f64 v[202:203], v[208:209], v[174:175]
	v_add_f64 v[204:205], v[1:2], v[216:217]
	v_fma_f64 v[248:249], v[206:207], v[172:173], -v[202:203]
	v_mul_f64 v[202:203], v[206:207], v[174:175]
	v_fma_f64 v[204:205], v[204:205], -0.5, v[196:197]
	v_add_f64 v[206:207], v[210:211], -v[218:219]
	v_fma_f64 v[250:251], v[208:209], v[172:173], v[202:203]
	v_add_f64 v[208:209], v[210:211], v[218:219]
	v_add_f64 v[202:203], v[196:197], v[1:2]
	v_add_f64 v[0:1], v[1:2], -v[216:217]
	v_fma_f64 v[196:197], v[206:207], s[16:17], v[204:205]
	v_fma_f64 v[206:207], v[206:207], s[10:11], v[204:205]
	v_add_f64 v[204:205], v[198:199], v[210:211]
	v_add_f64 v[2:3], v[222:223], -v[226:227]
	v_fma_f64 v[208:209], v[208:209], -0.5, v[198:199]
	v_add_f64 v[202:203], v[202:203], v[216:217]
	v_add_f64 v[204:205], v[204:205], v[218:219]
	v_fma_f64 v[198:199], v[0:1], s[10:11], v[208:209]
	v_fma_f64 v[208:209], v[0:1], s[16:17], v[208:209]
	v_add_f64 v[0:1], v[192:193], v[220:221]
	v_add_f64 v[214:215], v[0:1], v[224:225]
	;; [unrolled: 1-line block ×3, first 2 shown]
	v_fma_f64 v[0:1], v[0:1], -0.5, v[192:193]
	v_fma_f64 v[192:193], v[2:3], s[16:17], v[0:1]
	v_fma_f64 v[218:219], v[2:3], s[10:11], v[0:1]
	v_add_f64 v[0:1], v[194:195], v[222:223]
	v_add_f64 v[2:3], v[220:221], -v[224:225]
	v_add_f64 v[216:217], v[0:1], v[226:227]
	v_add_f64 v[0:1], v[222:223], v[226:227]
	v_fma_f64 v[0:1], v[0:1], -0.5, v[194:195]
	v_fma_f64 v[194:195], v[2:3], s[10:11], v[0:1]
	v_fma_f64 v[220:221], v[2:3], s[16:17], v[0:1]
	v_add_f64 v[0:1], v[188:189], v[228:229]
	v_add_f64 v[2:3], v[230:231], -v[234:235]
	v_add_f64 v[222:223], v[0:1], v[232:233]
	v_add_f64 v[0:1], v[228:229], v[232:233]
	;; [unrolled: 7-line block ×7, first 2 shown]
	v_fma_f64 v[0:1], v[0:1], -0.5, v[182:183]
	v_fma_f64 v[182:183], v[2:3], s[10:11], v[0:1]
	v_fma_f64 v[244:245], v[2:3], s[16:17], v[0:1]
	ds_write_b128 v6, v[202:205]
	ds_write_b128 v6, v[196:199] offset:2000
	ds_write_b128 v6, v[206:209] offset:4000
	ds_write_b128 v6, v[214:217] offset:400
	ds_write_b128 v6, v[192:195] offset:2400
	ds_write_b128 v6, v[218:221] offset:4400
	ds_write_b128 v6, v[222:225] offset:800
	ds_write_b128 v6, v[188:191] offset:2800
	ds_write_b128 v6, v[226:229] offset:4800
	ds_write_b128 v6, v[230:233] offset:1200
	ds_write_b128 v6, v[184:187] offset:3200
	ds_write_b128 v6, v[234:237] offset:5200
	ds_write_b128 v6, v[238:241] offset:1600
	ds_write_b128 v6, v[180:183] offset:3600
	ds_write_b128 v6, v[242:245] offset:5600
	s_waitcnt lgkmcnt(0)
	s_barrier
	global_load_dwordx4 v[186:189], v[200:201], off offset:1904
	ds_read_b128 v[182:185], v6
	v_add_co_u32_e32 v180, vcc, s18, v213
	v_addc_co_u32_e32 v181, vcc, 0, v212, vcc
	s_movk_i32 s18, 0x2000
	s_waitcnt vmcnt(0) lgkmcnt(0)
	v_mul_f64 v[0:1], v[184:185], v[188:189]
	v_fma_f64 v[190:191], v[182:183], v[186:187], -v[0:1]
	v_mul_f64 v[0:1], v[182:183], v[188:189]
	v_fma_f64 v[192:193], v[184:185], v[186:187], v[0:1]
	global_load_dwordx4 v[186:189], v[180:181], off offset:1200
	ds_read_b128 v[182:185], v6 offset:1200
	ds_write_b128 v6, v[190:193]
	s_waitcnt vmcnt(0) lgkmcnt(1)
	v_mul_f64 v[0:1], v[184:185], v[188:189]
	v_fma_f64 v[190:191], v[182:183], v[186:187], -v[0:1]
	v_mul_f64 v[0:1], v[182:183], v[188:189]
	v_fma_f64 v[192:193], v[184:185], v[186:187], v[0:1]
	global_load_dwordx4 v[186:189], v[180:181], off offset:2400
	ds_read_b128 v[182:185], v6 offset:2400
	ds_write_b128 v6, v[190:193] offset:1200
	s_waitcnt vmcnt(0) lgkmcnt(1)
	v_mul_f64 v[0:1], v[184:185], v[188:189]
	v_fma_f64 v[190:191], v[182:183], v[186:187], -v[0:1]
	v_mul_f64 v[0:1], v[182:183], v[188:189]
	v_fma_f64 v[192:193], v[184:185], v[186:187], v[0:1]
	global_load_dwordx4 v[186:189], v[180:181], off offset:3600
	ds_read_b128 v[182:185], v6 offset:3600
	ds_write_b128 v6, v[190:193] offset:2400
	s_waitcnt vmcnt(0) lgkmcnt(1)
	v_mul_f64 v[0:1], v[184:185], v[188:189]
	v_fma_f64 v[190:191], v[182:183], v[186:187], -v[0:1]
	v_mul_f64 v[0:1], v[182:183], v[188:189]
	v_add_co_u32_e32 v182, vcc, s18, v213
	v_addc_co_u32_e32 v183, vcc, 0, v212, vcc
	v_fma_f64 v[192:193], v[184:185], v[186:187], v[0:1]
	ds_read_b128 v[184:187], v6 offset:4800
	ds_write_b128 v6, v[190:193] offset:3600
	global_load_dwordx4 v[188:191], v[182:183], off offset:2608
	s_waitcnt vmcnt(0) lgkmcnt(1)
	v_mul_f64 v[0:1], v[186:187], v[190:191]
	v_fma_f64 v[192:193], v[184:185], v[188:189], -v[0:1]
	v_mul_f64 v[0:1], v[184:185], v[190:191]
	v_fma_f64 v[194:195], v[186:187], v[188:189], v[0:1]
	global_load_dwordx4 v[188:191], v[180:181], off offset:400
	ds_read_b128 v[184:187], v6 offset:400
	ds_write_b128 v6, v[192:195] offset:4800
	s_waitcnt vmcnt(0) lgkmcnt(1)
	v_mul_f64 v[0:1], v[186:187], v[190:191]
	v_fma_f64 v[192:193], v[184:185], v[188:189], -v[0:1]
	v_mul_f64 v[0:1], v[184:185], v[190:191]
	v_fma_f64 v[194:195], v[186:187], v[188:189], v[0:1]
	global_load_dwordx4 v[188:191], v[180:181], off offset:1600
	ds_read_b128 v[184:187], v6 offset:1600
	ds_write_b128 v6, v[192:195] offset:400
	;; [unrolled: 8-line block ×8, first 2 shown]
	s_waitcnt vmcnt(0) lgkmcnt(1)
	v_mul_f64 v[0:1], v[186:187], v[190:191]
	v_fma_f64 v[192:193], v[184:185], v[188:189], -v[0:1]
	v_mul_f64 v[0:1], v[184:185], v[190:191]
	v_fma_f64 v[194:195], v[186:187], v[188:189], v[0:1]
	global_load_dwordx4 v[188:191], v[182:183], off offset:2208
	ds_read_b128 v[184:187], v6 offset:4400
	global_load_dwordx4 v[180:183], v[182:183], off offset:3408
	ds_write_b128 v6, v[192:195] offset:3200
	s_waitcnt vmcnt(1) lgkmcnt(1)
	v_mul_f64 v[0:1], v[186:187], v[190:191]
	v_fma_f64 v[192:193], v[184:185], v[188:189], -v[0:1]
	v_mul_f64 v[0:1], v[184:185], v[190:191]
	v_fma_f64 v[194:195], v[186:187], v[188:189], v[0:1]
	ds_read_b128 v[184:187], v6 offset:5600
	s_waitcnt vmcnt(0) lgkmcnt(0)
	v_mul_f64 v[0:1], v[186:187], v[182:183]
	ds_write_b128 v6, v[192:195] offset:4400
	v_fma_f64 v[188:189], v[184:185], v[180:181], -v[0:1]
	v_mul_f64 v[0:1], v[184:185], v[182:183]
	v_fma_f64 v[190:191], v[186:187], v[180:181], v[0:1]
	ds_write_b128 v6, v[188:191] offset:5600
	s_waitcnt lgkmcnt(0)
	s_barrier
	ds_read_b128 v[192:195], v6
	ds_read_b128 v[220:223], v6 offset:1200
	ds_read_b128 v[224:227], v6 offset:2400
	;; [unrolled: 1-line block ×14, first 2 shown]
	s_waitcnt lgkmcnt(13)
	v_add_f64 v[180:181], v[192:193], v[220:221]
	s_waitcnt lgkmcnt(10)
	v_add_f64 v[182:183], v[222:223], -v[234:235]
	v_add_f64 v[190:191], v[226:227], -v[230:231]
	;; [unrolled: 1-line block ×5, first 2 shown]
	s_waitcnt lgkmcnt(0)
	s_barrier
	v_add_f64 v[180:181], v[180:181], v[224:225]
	v_add_f64 v[196:197], v[188:189], v[196:197]
	;; [unrolled: 1-line block ×5, first 2 shown]
	v_fma_f64 v[180:181], v[180:181], -0.5, v[192:193]
	v_fma_f64 v[186:187], v[182:183], s[14:15], v[180:181]
	v_fma_f64 v[180:181], v[182:183], s[4:5], v[180:181]
	;; [unrolled: 1-line block ×5, first 2 shown]
	v_add_f64 v[186:187], v[220:221], v[232:233]
	v_fma_f64 v[180:181], v[196:197], s[2:3], v[180:181]
	v_add_f64 v[196:197], v[224:225], -v[220:221]
	v_add_f64 v[220:221], v[220:221], -v[232:233]
	v_add_f64 v[224:225], v[224:225], -v[228:229]
	v_add_f64 v[228:229], v[234:235], -v[230:231]
	v_add_f64 v[232:233], v[242:243], -v[238:239]
	v_fma_f64 v[186:187], v[186:187], -0.5, v[192:193]
	v_add_f64 v[198:199], v[196:197], v[198:199]
	v_fma_f64 v[192:193], v[190:191], s[4:5], v[186:187]
	v_fma_f64 v[186:187], v[190:191], s[14:15], v[186:187]
	;; [unrolled: 1-line block ×6, first 2 shown]
	v_add_f64 v[182:183], v[194:195], v[222:223]
	v_add_f64 v[198:199], v[222:223], -v[226:227]
	v_add_f64 v[182:183], v[182:183], v[226:227]
	v_add_f64 v[198:199], v[198:199], v[228:229]
	v_add_f64 v[228:229], v[246:247], -v[250:251]
	v_add_f64 v[182:183], v[182:183], v[230:231]
	v_add_f64 v[232:233], v[228:229], v[232:233]
	;; [unrolled: 1-line block ×4, first 2 shown]
	v_fma_f64 v[182:183], v[182:183], -0.5, v[194:195]
	v_fma_f64 v[190:191], v[220:221], s[4:5], v[182:183]
	v_fma_f64 v[182:183], v[220:221], s[14:15], v[182:183]
	;; [unrolled: 1-line block ×6, first 2 shown]
	v_add_f64 v[198:199], v[222:223], v[234:235]
	v_add_f64 v[222:223], v[226:227], -v[222:223]
	v_add_f64 v[226:227], v[230:231], -v[234:235]
	;; [unrolled: 1-line block ×4, first 2 shown]
	v_fma_f64 v[194:195], v[198:199], -0.5, v[194:195]
	v_add_f64 v[222:223], v[222:223], v[226:227]
	v_fma_f64 v[198:199], v[224:225], s[14:15], v[194:195]
	v_fma_f64 v[194:195], v[224:225], s[4:5], v[194:195]
	;; [unrolled: 1-line block ×4, first 2 shown]
	v_add_f64 v[220:221], v[0:1], v[246:247]
	v_fma_f64 v[198:199], v[222:223], s[2:3], v[198:199]
	v_fma_f64 v[194:195], v[222:223], s[2:3], v[194:195]
	v_add_f64 v[220:221], v[220:221], v[250:251]
	v_add_f64 v[222:223], v[248:249], -v[244:245]
	v_add_f64 v[220:221], v[220:221], v[238:239]
	v_add_f64 v[224:225], v[220:221], v[242:243]
	;; [unrolled: 1-line block ×3, first 2 shown]
	v_fma_f64 v[220:221], v[220:221], -0.5, v[0:1]
	v_fma_f64 v[226:227], v[222:223], s[14:15], v[220:221]
	v_fma_f64 v[220:221], v[222:223], s[4:5], v[220:221]
	;; [unrolled: 1-line block ×5, first 2 shown]
	v_add_f64 v[226:227], v[246:247], v[242:243]
	v_fma_f64 v[220:221], v[232:233], s[2:3], v[220:221]
	v_add_f64 v[232:233], v[250:251], -v[246:247]
	v_fma_f64 v[0:1], v[226:227], -0.5, v[0:1]
	v_add_f64 v[232:233], v[232:233], v[234:235]
	v_add_f64 v[234:235], v[246:247], -v[242:243]
	v_add_f64 v[242:243], v[250:251], -v[238:239]
	;; [unrolled: 1-line block ×5, first 2 shown]
	v_fma_f64 v[226:227], v[230:231], s[4:5], v[0:1]
	v_fma_f64 v[0:1], v[230:231], s[14:15], v[0:1]
	v_add_f64 v[230:231], v[248:249], -v[252:253]
	v_fma_f64 v[226:227], v[222:223], s[6:7], v[226:227]
	v_fma_f64 v[0:1], v[222:223], s[8:9], v[0:1]
	v_add_f64 v[238:239], v[230:231], v[238:239]
	v_fma_f64 v[236:237], v[232:233], s[2:3], v[226:227]
	v_fma_f64 v[232:233], v[232:233], s[2:3], v[0:1]
	v_add_f64 v[0:1], v[2:3], v[248:249]
	v_add_f64 v[0:1], v[0:1], v[252:253]
	;; [unrolled: 1-line block ×5, first 2 shown]
	v_add_f64 v[240:241], v[240:241], -v[244:245]
	v_fma_f64 v[0:1], v[0:1], -0.5, v[2:3]
	v_fma_f64 v[222:223], v[234:235], s[4:5], v[0:1]
	v_fma_f64 v[0:1], v[234:235], s[14:15], v[0:1]
	;; [unrolled: 1-line block ×6, first 2 shown]
	v_add_f64 v[0:1], v[248:249], v[244:245]
	v_add_f64 v[238:239], v[252:253], -v[248:249]
	v_add_f64 v[244:245], v[208:209], -v[212:213]
	;; [unrolled: 1-line block ×3, first 2 shown]
	v_fma_f64 v[0:1], v[0:1], -0.5, v[2:3]
	v_add_f64 v[240:241], v[238:239], v[240:241]
	v_add_f64 v[244:245], v[244:245], v[248:249]
	v_add_f64 v[248:249], v[212:213], -v[208:209]
	v_fma_f64 v[2:3], v[242:243], s[14:15], v[0:1]
	v_fma_f64 v[0:1], v[242:243], s[4:5], v[0:1]
	v_add_f64 v[242:243], v[210:211], -v[206:207]
	v_add_f64 v[248:249], v[248:249], v[250:251]
	v_fma_f64 v[2:3], v[234:235], s[8:9], v[2:3]
	v_fma_f64 v[0:1], v[234:235], s[6:7], v[0:1]
	;; [unrolled: 1-line block ×3, first 2 shown]
	v_add_f64 v[2:3], v[212:213], v[200:201]
	v_fma_f64 v[234:235], v[240:241], s[2:3], v[0:1]
	v_add_f64 v[0:1], v[216:217], v[208:209]
	v_fma_f64 v[2:3], v[2:3], -0.5, v[216:217]
	v_add_f64 v[0:1], v[0:1], v[212:213]
	v_fma_f64 v[240:241], v[242:243], s[14:15], v[2:3]
	v_fma_f64 v[2:3], v[242:243], s[4:5], v[2:3]
	v_add_f64 v[0:1], v[0:1], v[200:201]
	v_add_f64 v[200:201], v[212:213], -v[200:201]
	v_add_f64 v[212:213], v[210:211], -v[214:215]
	v_fma_f64 v[240:241], v[246:247], s[6:7], v[240:241]
	v_fma_f64 v[2:3], v[246:247], s[8:9], v[2:3]
	v_add_f64 v[0:1], v[0:1], v[204:205]
	v_fma_f64 v[240:241], v[244:245], s[2:3], v[240:241]
	v_fma_f64 v[244:245], v[244:245], s[2:3], v[2:3]
	v_add_f64 v[2:3], v[208:209], v[204:205]
	v_add_f64 v[204:205], v[208:209], -v[204:205]
	v_fma_f64 v[2:3], v[2:3], -0.5, v[216:217]
	v_fma_f64 v[216:217], v[246:247], s[4:5], v[2:3]
	v_fma_f64 v[2:3], v[246:247], s[14:15], v[2:3]
	;; [unrolled: 1-line block ×4, first 2 shown]
	v_add_f64 v[242:243], v[214:215], v[202:203]
	v_fma_f64 v[216:217], v[248:249], s[2:3], v[216:217]
	v_fma_f64 v[248:249], v[248:249], s[2:3], v[2:3]
	v_fma_f64 v[246:247], v[242:243], -0.5, v[218:219]
	v_add_f64 v[242:243], v[206:207], -v[202:203]
	v_add_f64 v[2:3], v[218:219], v[210:211]
	v_fma_f64 v[208:209], v[204:205], s[4:5], v[246:247]
	v_add_f64 v[212:213], v[212:213], v[242:243]
	v_add_f64 v[2:3], v[2:3], v[214:215]
	v_fma_f64 v[208:209], v[200:201], s[8:9], v[208:209]
	v_add_f64 v[2:3], v[2:3], v[202:203]
	v_add_f64 v[202:203], v[202:203], -v[206:207]
	v_fma_f64 v[242:243], v[212:213], s[2:3], v[208:209]
	v_fma_f64 v[208:209], v[204:205], s[14:15], v[246:247]
	v_add_f64 v[2:3], v[2:3], v[206:207]
	v_fma_f64 v[208:209], v[200:201], s[6:7], v[208:209]
	v_fma_f64 v[246:247], v[212:213], s[2:3], v[208:209]
	v_add_f64 v[208:209], v[210:211], v[206:207]
	v_add_f64 v[210:211], v[214:215], -v[210:211]
	v_fma_f64 v[208:209], v[208:209], -0.5, v[218:219]
	v_add_f64 v[202:203], v[210:211], v[202:203]
	v_fma_f64 v[212:213], v[200:201], s[14:15], v[208:209]
	v_fma_f64 v[200:201], v[200:201], s[4:5], v[208:209]
	;; [unrolled: 1-line block ×6, first 2 shown]
	ds_write_b128 v8, v[184:187]
	ds_write_b128 v8, v[188:191] offset:16
	ds_write_b128 v8, v[196:199] offset:32
	ds_write_b128 v8, v[192:195] offset:48
	ds_write_b128 v8, v[180:183] offset:64
	ds_write_b128 v7, v[224:227]
	ds_write_b128 v7, v[228:231] offset:16
	ds_write_b128 v7, v[236:239] offset:32
	ds_write_b128 v7, v[232:235] offset:48
	ds_write_b128 v7, v[220:223] offset:64
	;; [unrolled: 5-line block ×3, first 2 shown]
	s_waitcnt lgkmcnt(0)
	s_barrier
	ds_read_b128 v[188:191], v6
	ds_read_b128 v[0:3], v6 offset:1200
	ds_read_b128 v[192:195], v6 offset:2400
	;; [unrolled: 1-line block ×14, first 2 shown]
	s_waitcnt lgkmcnt(13)
	v_mul_f64 v[7:8], v[82:83], v[2:3]
	s_waitcnt lgkmcnt(0)
	s_barrier
	v_fma_f64 v[7:8], v[80:81], v[0:1], v[7:8]
	v_mul_f64 v[0:1], v[82:83], v[0:1]
	v_fma_f64 v[0:1], v[80:81], v[2:3], -v[0:1]
	v_mul_f64 v[2:3], v[70:71], v[194:195]
	v_mul_f64 v[70:71], v[70:71], v[192:193]
	v_fma_f64 v[2:3], v[68:69], v[192:193], v[2:3]
	v_fma_f64 v[80:81], v[68:69], v[194:195], -v[70:71]
	v_mul_f64 v[68:69], v[66:67], v[198:199]
	v_mul_f64 v[66:67], v[66:67], v[196:197]
	v_fma_f64 v[70:71], v[64:65], v[196:197], v[68:69]
	v_fma_f64 v[82:83], v[64:65], v[198:199], -v[66:67]
	v_mul_f64 v[64:65], v[62:63], v[202:203]
	v_mul_f64 v[62:63], v[62:63], v[200:201]
	v_add_f64 v[68:69], v[7:8], -v[2:3]
	v_fma_f64 v[66:67], v[60:61], v[200:201], v[64:65]
	v_fma_f64 v[202:203], v[60:61], v[202:203], -v[62:63]
	v_mul_f64 v[60:61], v[90:91], v[206:207]
	v_add_f64 v[62:63], v[2:3], v[70:71]
	v_fma_f64 v[236:237], v[88:89], v[204:205], v[60:61]
	v_mul_f64 v[60:61], v[90:91], v[204:205]
	v_fma_f64 v[62:63], v[62:63], -0.5, v[188:189]
	v_fma_f64 v[194:195], v[88:89], v[206:207], -v[60:61]
	v_mul_f64 v[60:61], v[86:87], v[210:211]
	v_fma_f64 v[90:91], v[84:85], v[208:209], v[60:61]
	v_mul_f64 v[60:61], v[86:87], v[208:209]
	v_fma_f64 v[196:197], v[84:85], v[210:211], -v[60:61]
	v_mul_f64 v[60:61], v[78:79], v[214:215]
	v_add_f64 v[84:85], v[70:71], -v[66:67]
	v_fma_f64 v[86:87], v[76:77], v[212:213], v[60:61]
	v_mul_f64 v[60:61], v[78:79], v[212:213]
	v_add_f64 v[78:79], v[2:3], -v[7:8]
	v_fma_f64 v[198:199], v[76:77], v[214:215], -v[60:61]
	v_mul_f64 v[60:61], v[74:75], v[218:219]
	v_add_f64 v[76:77], v[66:67], -v[70:71]
	v_add_f64 v[78:79], v[78:79], v[84:85]
	v_add_f64 v[84:85], v[236:237], -v[90:91]
	v_fma_f64 v[204:205], v[72:73], v[216:217], v[60:61]
	v_mul_f64 v[60:61], v[74:75], v[216:217]
	v_add_f64 v[74:75], v[80:81], -v[82:83]
	v_add_f64 v[76:77], v[68:69], v[76:77]
	v_add_f64 v[88:89], v[204:205], -v[86:87]
	v_fma_f64 v[200:201], v[72:73], v[218:219], -v[60:61]
	v_mul_f64 v[60:61], v[106:107], v[222:223]
	v_add_f64 v[72:73], v[0:1], -v[202:203]
	v_add_f64 v[84:85], v[84:85], v[88:89]
	v_fma_f64 v[192:193], v[104:105], v[220:221], v[60:61]
	v_mul_f64 v[60:61], v[106:107], v[220:221]
	v_fma_f64 v[64:65], v[72:73], s[14:15], v[62:63]
	v_fma_f64 v[62:63], v[72:73], s[4:5], v[62:63]
	v_fma_f64 v[104:105], v[104:105], v[222:223], -v[60:61]
	v_mul_f64 v[60:61], v[102:103], v[226:227]
	v_fma_f64 v[64:65], v[74:75], s[6:7], v[64:65]
	v_fma_f64 v[62:63], v[74:75], s[8:9], v[62:63]
	;; [unrolled: 1-line block ×3, first 2 shown]
	v_mul_f64 v[60:61], v[102:103], v[224:225]
	v_fma_f64 v[68:69], v[76:77], s[2:3], v[64:65]
	v_fma_f64 v[64:65], v[76:77], s[2:3], v[62:63]
	v_add_f64 v[62:63], v[7:8], v[66:67]
	v_fma_f64 v[100:101], v[100:101], v[226:227], -v[60:61]
	v_mul_f64 v[60:61], v[98:99], v[230:231]
	v_fma_f64 v[62:63], v[62:63], -0.5, v[188:189]
	v_fma_f64 v[102:103], v[96:97], v[228:229], v[60:61]
	v_mul_f64 v[60:61], v[98:99], v[228:229]
	v_fma_f64 v[76:77], v[74:75], s[4:5], v[62:63]
	v_fma_f64 v[62:63], v[74:75], s[14:15], v[62:63]
	v_add_f64 v[74:75], v[80:81], v[82:83]
	v_fma_f64 v[96:97], v[96:97], v[230:231], -v[60:61]
	v_mul_f64 v[60:61], v[94:95], v[234:235]
	v_fma_f64 v[76:77], v[72:73], s[6:7], v[76:77]
	v_fma_f64 v[62:63], v[72:73], s[8:9], v[62:63]
	v_fma_f64 v[74:75], v[74:75], -0.5, v[190:191]
	v_fma_f64 v[98:99], v[92:93], v[232:233], v[60:61]
	v_mul_f64 v[60:61], v[94:95], v[232:233]
	v_fma_f64 v[76:77], v[78:79], s[2:3], v[76:77]
	v_fma_f64 v[72:73], v[78:79], s[2:3], v[62:63]
	v_add_f64 v[78:79], v[202:203], -v[82:83]
	v_add_f64 v[62:63], v[190:191], v[0:1]
	v_add_f64 v[94:95], v[90:91], -v[236:237]
	v_fma_f64 v[92:93], v[92:93], v[234:235], -v[60:61]
	v_add_f64 v[60:61], v[188:189], v[7:8]
	v_add_f64 v[7:8], v[7:8], -v[66:67]
	v_add_f64 v[188:189], v[90:91], -v[86:87]
	v_add_f64 v[62:63], v[62:63], v[80:81]
	v_add_f64 v[60:61], v[60:61], v[2:3]
	v_add_f64 v[2:3], v[2:3], -v[70:71]
	v_add_f64 v[62:63], v[62:63], v[82:83]
	v_add_f64 v[60:61], v[60:61], v[70:71]
	;; [unrolled: 3-line block ×3, first 2 shown]
	v_fma_f64 v[66:67], v[7:8], s[4:5], v[74:75]
	v_add_f64 v[78:79], v[70:71], v[78:79]
	v_fma_f64 v[66:67], v[2:3], s[8:9], v[66:67]
	v_fma_f64 v[70:71], v[78:79], s[2:3], v[66:67]
	;; [unrolled: 1-line block ×3, first 2 shown]
	v_add_f64 v[74:75], v[0:1], v[202:203]
	v_add_f64 v[0:1], v[80:81], -v[0:1]
	v_add_f64 v[80:81], v[82:83], -v[202:203]
	;; [unrolled: 1-line block ×3, first 2 shown]
	v_fma_f64 v[66:67], v[2:3], s[6:7], v[66:67]
	v_fma_f64 v[74:75], v[74:75], -0.5, v[190:191]
	v_add_f64 v[190:191], v[198:199], -v[200:201]
	v_add_f64 v[0:1], v[0:1], v[80:81]
	v_fma_f64 v[66:67], v[78:79], s[2:3], v[66:67]
	v_fma_f64 v[78:79], v[2:3], s[14:15], v[74:75]
	;; [unrolled: 1-line block ×7, first 2 shown]
	v_add_f64 v[0:1], v[184:185], v[236:237]
	v_add_f64 v[2:3], v[194:195], -v[200:201]
	v_add_f64 v[0:1], v[0:1], v[90:91]
	v_add_f64 v[0:1], v[0:1], v[86:87]
	;; [unrolled: 1-line block ×4, first 2 shown]
	v_add_f64 v[90:91], v[194:195], -v[196:197]
	v_fma_f64 v[0:1], v[0:1], -0.5, v[184:185]
	v_fma_f64 v[7:8], v[2:3], s[14:15], v[0:1]
	v_fma_f64 v[0:1], v[2:3], s[4:5], v[0:1]
	;; [unrolled: 1-line block ×6, first 2 shown]
	v_add_f64 v[0:1], v[236:237], v[204:205]
	v_fma_f64 v[7:8], v[0:1], -0.5, v[184:185]
	v_add_f64 v[184:185], v[86:87], -v[204:205]
	v_fma_f64 v[0:1], v[82:83], s[4:5], v[7:8]
	v_fma_f64 v[7:8], v[82:83], s[14:15], v[7:8]
	v_add_f64 v[94:95], v[94:95], v[184:185]
	v_fma_f64 v[0:1], v[2:3], s[6:7], v[0:1]
	v_fma_f64 v[2:3], v[2:3], s[8:9], v[7:8]
	v_add_f64 v[7:8], v[236:237], -v[204:205]
	v_fma_f64 v[0:1], v[94:95], s[2:3], v[0:1]
	v_fma_f64 v[184:185], v[94:95], s[2:3], v[2:3]
	v_add_f64 v[2:3], v[186:187], v[194:195]
	v_add_f64 v[2:3], v[2:3], v[196:197]
	;; [unrolled: 1-line block ×5, first 2 shown]
	v_fma_f64 v[2:3], v[2:3], -0.5, v[186:187]
	v_fma_f64 v[94:95], v[7:8], s[4:5], v[2:3]
	v_fma_f64 v[2:3], v[7:8], s[14:15], v[2:3]
	;; [unrolled: 1-line block ×3, first 2 shown]
	v_add_f64 v[94:95], v[200:201], -v[198:199]
	v_fma_f64 v[2:3], v[188:189], s[6:7], v[2:3]
	v_add_f64 v[198:199], v[98:99], -v[102:103]
	v_add_f64 v[94:95], v[90:91], v[94:95]
	v_fma_f64 v[90:91], v[94:95], s[2:3], v[86:87]
	v_fma_f64 v[86:87], v[94:95], s[2:3], v[2:3]
	v_add_f64 v[2:3], v[194:195], v[200:201]
	v_add_f64 v[200:201], v[102:103], -v[98:99]
	v_fma_f64 v[94:95], v[2:3], -0.5, v[186:187]
	v_add_f64 v[186:187], v[196:197], -v[194:195]
	v_add_f64 v[196:197], v[100:101], -v[96:97]
	;; [unrolled: 1-line block ×3, first 2 shown]
	v_fma_f64 v[2:3], v[188:189], s[14:15], v[94:95]
	v_fma_f64 v[94:95], v[188:189], s[4:5], v[94:95]
	v_add_f64 v[186:187], v[186:187], v[190:191]
	v_add_f64 v[190:191], v[104:105], -v[92:93]
	v_add_f64 v[198:199], v[194:195], v[198:199]
	v_fma_f64 v[2:3], v[7:8], s[8:9], v[2:3]
	v_fma_f64 v[7:8], v[7:8], s[6:7], v[94:95]
	;; [unrolled: 1-line block ×4, first 2 shown]
	v_add_f64 v[7:8], v[180:181], v[192:193]
	v_add_f64 v[7:8], v[7:8], v[106:107]
	;; [unrolled: 1-line block ×5, first 2 shown]
	v_add_f64 v[102:103], v[106:107], -v[102:103]
	v_fma_f64 v[7:8], v[7:8], -0.5, v[180:181]
	v_fma_f64 v[94:95], v[190:191], s[14:15], v[7:8]
	v_fma_f64 v[7:8], v[190:191], s[4:5], v[7:8]
	;; [unrolled: 1-line block ×6, first 2 shown]
	v_add_f64 v[7:8], v[192:193], v[98:99]
	v_add_f64 v[98:99], v[192:193], -v[98:99]
	v_fma_f64 v[7:8], v[7:8], -0.5, v[180:181]
	v_add_f64 v[180:181], v[106:107], -v[192:193]
	v_fma_f64 v[94:95], v[196:197], s[4:5], v[7:8]
	v_fma_f64 v[7:8], v[196:197], s[14:15], v[7:8]
	v_add_f64 v[180:181], v[180:181], v[200:201]
	v_add_f64 v[196:197], v[92:93], -v[96:97]
	v_fma_f64 v[94:95], v[190:191], s[6:7], v[94:95]
	v_fma_f64 v[7:8], v[190:191], s[8:9], v[7:8]
	;; [unrolled: 1-line block ×4, first 2 shown]
	v_add_f64 v[7:8], v[182:183], v[104:105]
	v_add_f64 v[7:8], v[7:8], v[100:101]
	;; [unrolled: 1-line block ×5, first 2 shown]
	v_fma_f64 v[7:8], v[7:8], -0.5, v[182:183]
	v_fma_f64 v[192:193], v[98:99], s[4:5], v[7:8]
	v_fma_f64 v[7:8], v[98:99], s[14:15], v[7:8]
	;; [unrolled: 1-line block ×3, first 2 shown]
	v_add_f64 v[192:193], v[104:105], -v[100:101]
	v_fma_f64 v[7:8], v[102:103], s[6:7], v[7:8]
	v_add_f64 v[100:101], v[100:101], -v[104:105]
	v_add_f64 v[192:193], v[192:193], v[196:197]
	v_fma_f64 v[200:201], v[192:193], s[2:3], v[7:8]
	v_add_f64 v[7:8], v[104:105], v[92:93]
	v_fma_f64 v[196:197], v[192:193], s[2:3], v[106:107]
	v_add_f64 v[92:93], v[96:97], -v[92:93]
	v_fma_f64 v[7:8], v[7:8], -0.5, v[182:183]
	v_add_f64 v[92:93], v[100:101], v[92:93]
	v_fma_f64 v[106:107], v[102:103], s[14:15], v[7:8]
	v_fma_f64 v[7:8], v[102:103], s[4:5], v[7:8]
	;; [unrolled: 1-line block ×6, first 2 shown]
	ds_write_b128 v255, v[60:63]
	ds_write_b128 v255, v[68:71] offset:80
	ds_write_b128 v255, v[76:79] offset:160
	ds_write_b128 v255, v[72:75] offset:240
	ds_write_b128 v255, v[64:67] offset:320
	ds_write_b128 v9, v[80:83]
	ds_write_b128 v9, v[88:91] offset:80
	ds_write_b128 v9, v[0:3] offset:160
	ds_write_b128 v9, v[184:187] offset:240
	ds_write_b128 v9, v[84:87] offset:320
	;; [unrolled: 5-line block ×3, first 2 shown]
	s_waitcnt lgkmcnt(0)
	s_barrier
	ds_read_b128 v[80:83], v6
	ds_read_b128 v[0:3], v6 offset:1200
	ds_read_b128 v[64:67], v6 offset:2400
	;; [unrolled: 1-line block ×14, first 2 shown]
	s_waitcnt lgkmcnt(13)
	v_mul_f64 v[4:5], v[122:123], v[2:3]
	s_waitcnt lgkmcnt(12)
	v_mul_f64 v[7:8], v[118:119], v[64:65]
	s_waitcnt lgkmcnt(0)
	s_barrier
	v_fma_f64 v[4:5], v[120:121], v[0:1], v[4:5]
	v_mul_f64 v[0:1], v[122:123], v[0:1]
	v_fma_f64 v[7:8], v[116:117], v[66:67], -v[7:8]
	v_fma_f64 v[0:1], v[120:121], v[2:3], -v[0:1]
	v_mul_f64 v[2:3], v[118:119], v[66:67]
	v_fma_f64 v[2:3], v[116:117], v[64:65], v[2:3]
	v_mul_f64 v[64:65], v[114:115], v[70:71]
	v_fma_f64 v[188:189], v[112:113], v[68:69], v[64:65]
	v_mul_f64 v[64:65], v[114:115], v[68:69]
	v_add_f64 v[66:67], v[2:3], v[188:189]
	v_fma_f64 v[190:191], v[112:113], v[70:71], -v[64:65]
	v_mul_f64 v[64:65], v[110:111], v[74:75]
	v_fma_f64 v[66:67], v[66:67], -0.5, v[80:81]
	v_fma_f64 v[70:71], v[108:109], v[72:73], v[64:65]
	v_mul_f64 v[64:65], v[110:111], v[72:73]
	v_add_f64 v[72:73], v[4:5], -v[2:3]
	v_fma_f64 v[192:193], v[108:109], v[74:75], -v[64:65]
	v_mul_f64 v[64:65], v[122:123], v[86:87]
	v_add_f64 v[74:75], v[0:1], -v[192:193]
	v_fma_f64 v[194:195], v[120:121], v[84:85], v[64:65]
	v_mul_f64 v[64:65], v[122:123], v[84:85]
	v_add_f64 v[84:85], v[70:71], -v[188:189]
	v_fma_f64 v[68:69], v[74:75], s[14:15], v[66:67]
	v_fma_f64 v[66:67], v[74:75], s[4:5], v[66:67]
	v_fma_f64 v[120:121], v[120:121], v[86:87], -v[64:65]
	v_mul_f64 v[64:65], v[118:119], v[90:91]
	v_add_f64 v[86:87], v[7:8], -v[190:191]
	v_add_f64 v[84:85], v[72:73], v[84:85]
	v_fma_f64 v[196:197], v[116:117], v[88:89], v[64:65]
	v_mul_f64 v[64:65], v[118:119], v[88:89]
	v_fma_f64 v[68:69], v[86:87], s[6:7], v[68:69]
	v_fma_f64 v[66:67], v[86:87], s[8:9], v[66:67]
	v_add_f64 v[88:89], v[188:189], -v[70:71]
	v_fma_f64 v[116:117], v[116:117], v[90:91], -v[64:65]
	v_mul_f64 v[64:65], v[114:115], v[94:95]
	v_fma_f64 v[72:73], v[84:85], s[2:3], v[68:69]
	v_fma_f64 v[68:69], v[84:85], s[2:3], v[66:67]
	v_add_f64 v[66:67], v[4:5], v[70:71]
	v_add_f64 v[84:85], v[2:3], -v[4:5]
	v_add_f64 v[90:91], v[194:195], -v[196:197]
	v_fma_f64 v[198:199], v[112:113], v[92:93], v[64:65]
	v_mul_f64 v[64:65], v[114:115], v[92:93]
	v_fma_f64 v[66:67], v[66:67], -0.5, v[80:81]
	v_add_f64 v[88:89], v[84:85], v[88:89]
	v_fma_f64 v[118:119], v[112:113], v[94:95], -v[64:65]
	v_mul_f64 v[64:65], v[110:111], v[98:99]
	v_fma_f64 v[94:95], v[108:109], v[96:97], v[64:65]
	v_mul_f64 v[64:65], v[110:111], v[96:97]
	v_add_f64 v[92:93], v[94:95], -v[198:199]
	v_fma_f64 v[122:123], v[108:109], v[98:99], -v[64:65]
	v_mul_f64 v[64:65], v[142:143], v[102:103]
	v_add_f64 v[90:91], v[90:91], v[92:93]
	v_add_f64 v[98:99], v[122:123], -v[118:119]
	v_fma_f64 v[108:109], v[140:141], v[100:101], v[64:65]
	v_mul_f64 v[64:65], v[142:143], v[100:101]
	v_fma_f64 v[100:101], v[140:141], v[102:103], -v[64:65]
	v_mul_f64 v[64:65], v[138:139], v[106:107]
	v_fma_f64 v[110:111], v[136:137], v[104:105], v[64:65]
	v_mul_f64 v[64:65], v[138:139], v[104:105]
	v_fma_f64 v[102:103], v[136:137], v[106:107], -v[64:65]
	v_mul_f64 v[64:65], v[134:135], v[182:183]
	;; [unrolled: 4-line block ×3, first 2 shown]
	v_fma_f64 v[114:115], v[128:129], v[184:185], v[64:65]
	v_mul_f64 v[64:65], v[130:131], v[184:185]
	v_add_f64 v[130:131], v[112:113], -v[114:115]
	v_fma_f64 v[106:107], v[128:129], v[186:187], -v[64:65]
	v_add_f64 v[64:65], v[80:81], v[4:5]
	v_fma_f64 v[80:81], v[86:87], s[4:5], v[66:67]
	v_fma_f64 v[66:67], v[86:87], s[14:15], v[66:67]
	v_add_f64 v[4:5], v[4:5], -v[70:71]
	v_add_f64 v[128:129], v[196:197], -v[198:199]
	v_add_f64 v[64:65], v[64:65], v[2:3]
	v_fma_f64 v[80:81], v[74:75], s[6:7], v[80:81]
	v_fma_f64 v[66:67], v[74:75], s[8:9], v[66:67]
	v_add_f64 v[74:75], v[7:8], v[190:191]
	v_add_f64 v[2:3], v[2:3], -v[188:189]
	v_add_f64 v[64:65], v[64:65], v[188:189]
	v_fma_f64 v[84:85], v[88:89], s[2:3], v[80:81]
	v_fma_f64 v[80:81], v[88:89], s[2:3], v[66:67]
	v_fma_f64 v[86:87], v[74:75], -0.5, v[82:83]
	v_add_f64 v[74:75], v[0:1], -v[7:8]
	v_add_f64 v[88:89], v[192:193], -v[190:191]
	v_add_f64 v[66:67], v[82:83], v[0:1]
	v_add_f64 v[64:65], v[64:65], v[70:71]
	v_fma_f64 v[70:71], v[4:5], s[4:5], v[86:87]
	v_add_f64 v[88:89], v[74:75], v[88:89]
	v_add_f64 v[66:67], v[66:67], v[7:8]
	v_fma_f64 v[70:71], v[2:3], s[8:9], v[70:71]
	v_add_f64 v[66:67], v[66:67], v[190:191]
	v_fma_f64 v[74:75], v[88:89], s[2:3], v[70:71]
	v_fma_f64 v[70:71], v[4:5], s[14:15], v[86:87]
	v_add_f64 v[86:87], v[0:1], v[192:193]
	v_add_f64 v[0:1], v[7:8], -v[0:1]
	v_add_f64 v[7:8], v[190:191], -v[192:193]
	v_add_f64 v[66:67], v[66:67], v[192:193]
	v_fma_f64 v[70:71], v[2:3], s[6:7], v[70:71]
	v_fma_f64 v[82:83], v[86:87], -0.5, v[82:83]
	v_add_f64 v[0:1], v[0:1], v[7:8]
	v_add_f64 v[7:8], v[116:117], -v[118:119]
	v_fma_f64 v[70:71], v[88:89], s[2:3], v[70:71]
	v_fma_f64 v[86:87], v[2:3], s[14:15], v[82:83]
	;; [unrolled: 1-line block ×7, first 2 shown]
	v_add_f64 v[0:1], v[76:77], v[194:195]
	v_add_f64 v[2:3], v[120:121], -v[122:123]
	v_add_f64 v[0:1], v[0:1], v[196:197]
	v_add_f64 v[0:1], v[0:1], v[198:199]
	;; [unrolled: 1-line block ×4, first 2 shown]
	v_fma_f64 v[0:1], v[0:1], -0.5, v[76:77]
	v_fma_f64 v[4:5], v[2:3], s[14:15], v[0:1]
	v_fma_f64 v[0:1], v[2:3], s[4:5], v[0:1]
	;; [unrolled: 1-line block ×6, first 2 shown]
	v_add_f64 v[0:1], v[194:195], v[94:95]
	v_add_f64 v[90:91], v[198:199], -v[94:95]
	v_fma_f64 v[4:5], v[0:1], -0.5, v[76:77]
	v_add_f64 v[76:77], v[196:197], -v[194:195]
	v_fma_f64 v[0:1], v[7:8], s[4:5], v[4:5]
	v_fma_f64 v[4:5], v[7:8], s[14:15], v[4:5]
	v_add_f64 v[76:77], v[76:77], v[90:91]
	v_fma_f64 v[0:1], v[2:3], s[6:7], v[0:1]
	v_fma_f64 v[2:3], v[2:3], s[8:9], v[4:5]
	v_add_f64 v[4:5], v[194:195], -v[94:95]
	v_add_f64 v[94:95], v[120:121], -v[116:117]
	v_fma_f64 v[0:1], v[76:77], s[2:3], v[0:1]
	v_fma_f64 v[76:77], v[76:77], s[2:3], v[2:3]
	v_add_f64 v[2:3], v[78:79], v[120:121]
	v_add_f64 v[94:95], v[94:95], v[98:99]
	;; [unrolled: 1-line block ×6, first 2 shown]
	v_fma_f64 v[2:3], v[2:3], -0.5, v[78:79]
	v_fma_f64 v[7:8], v[4:5], s[4:5], v[2:3]
	v_fma_f64 v[2:3], v[4:5], s[14:15], v[2:3]
	;; [unrolled: 1-line block ×6, first 2 shown]
	v_add_f64 v[2:3], v[120:121], v[122:123]
	v_fma_f64 v[7:8], v[2:3], -0.5, v[78:79]
	v_add_f64 v[78:79], v[116:117], -v[120:121]
	v_add_f64 v[116:117], v[118:119], -v[122:123]
	;; [unrolled: 1-line block ×4, first 2 shown]
	v_fma_f64 v[2:3], v[128:129], s[14:15], v[7:8]
	v_fma_f64 v[7:8], v[128:129], s[4:5], v[7:8]
	v_add_f64 v[78:79], v[78:79], v[116:117]
	v_add_f64 v[128:129], v[114:115], -v[112:113]
	v_fma_f64 v[2:3], v[4:5], s[8:9], v[2:3]
	v_fma_f64 v[4:5], v[4:5], s[6:7], v[7:8]
	v_add_f64 v[7:8], v[100:101], -v[106:107]
	v_add_f64 v[128:129], v[120:121], v[128:129]
	v_fma_f64 v[2:3], v[78:79], s[2:3], v[2:3]
	v_fma_f64 v[78:79], v[78:79], s[2:3], v[4:5]
	v_add_f64 v[4:5], v[60:61], v[108:109]
	v_add_f64 v[4:5], v[4:5], v[110:111]
	;; [unrolled: 1-line block ×5, first 2 shown]
	v_fma_f64 v[4:5], v[4:5], -0.5, v[60:61]
	v_fma_f64 v[118:119], v[7:8], s[14:15], v[4:5]
	v_fma_f64 v[4:5], v[7:8], s[4:5], v[4:5]
	;; [unrolled: 1-line block ×6, first 2 shown]
	v_add_f64 v[4:5], v[108:109], v[114:115]
	v_add_f64 v[118:119], v[110:111], -v[108:109]
	v_add_f64 v[110:111], v[110:111], -v[112:113]
	;; [unrolled: 1-line block ×3, first 2 shown]
	v_fma_f64 v[4:5], v[4:5], -0.5, v[60:61]
	v_add_f64 v[118:119], v[118:119], v[130:131]
	v_fma_f64 v[60:61], v[122:123], s[4:5], v[4:5]
	v_fma_f64 v[4:5], v[122:123], s[14:15], v[4:5]
	v_fma_f64 v[60:61], v[7:8], s[6:7], v[60:61]
	v_fma_f64 v[4:5], v[7:8], s[8:9], v[4:5]
	v_add_f64 v[7:8], v[108:109], -v[114:115]
	v_add_f64 v[114:115], v[106:107], -v[104:105]
	v_fma_f64 v[60:61], v[118:119], s[2:3], v[60:61]
	v_fma_f64 v[132:133], v[118:119], s[2:3], v[4:5]
	v_add_f64 v[4:5], v[62:63], v[100:101]
	v_add_f64 v[112:113], v[112:113], v[114:115]
	;; [unrolled: 1-line block ×6, first 2 shown]
	v_fma_f64 v[4:5], v[4:5], -0.5, v[62:63]
	v_fma_f64 v[108:109], v[7:8], s[4:5], v[4:5]
	v_fma_f64 v[4:5], v[7:8], s[14:15], v[4:5]
	;; [unrolled: 1-line block ×6, first 2 shown]
	v_add_f64 v[4:5], v[100:101], v[106:107]
	v_add_f64 v[100:101], v[102:103], -v[100:101]
	v_add_f64 v[102:103], v[104:105], -v[106:107]
	v_fma_f64 v[4:5], v[4:5], -0.5, v[62:63]
	v_add_f64 v[100:101], v[100:101], v[102:103]
	v_fma_f64 v[62:63], v[110:111], s[14:15], v[4:5]
	v_fma_f64 v[4:5], v[110:111], s[4:5], v[4:5]
	;; [unrolled: 1-line block ×6, first 2 shown]
	ds_write_b128 v6, v[64:67]
	ds_write_b128 v6, v[72:75] offset:400
	ds_write_b128 v6, v[84:87] offset:800
	ds_write_b128 v6, v[80:83] offset:1200
	ds_write_b128 v6, v[68:71] offset:1600
	ds_write_b128 v6, v[88:91] offset:2000
	ds_write_b128 v6, v[96:99] offset:2400
	ds_write_b128 v6, v[0:3] offset:2800
	ds_write_b128 v6, v[76:79] offset:3200
	ds_write_b128 v6, v[92:95] offset:3600
	ds_write_b128 v10, v[116:119] offset:4000
	ds_write_b128 v10, v[120:123] offset:4400
	ds_write_b128 v10, v[60:63] offset:4800
	ds_write_b128 v10, v[132:135] offset:5200
	ds_write_b128 v10, v[128:131] offset:5600
	s_waitcnt lgkmcnt(0)
	s_barrier
	ds_read_b128 v[0:3], v6
	ds_read_b128 v[7:10], v6 offset:2000
	ds_read_b128 v[60:63], v6 offset:4000
	;; [unrolled: 1-line block ×14, first 2 shown]
	s_waitcnt lgkmcnt(13)
	v_mul_f64 v[4:5], v[146:147], v[9:10]
	s_mov_b32 s2, 0xc3ece2a5
	s_mov_b32 s3, 0x3f65d867
	v_fma_f64 v[4:5], v[144:145], v[7:8], v[4:5]
	v_mul_f64 v[7:8], v[146:147], v[7:8]
	v_fma_f64 v[112:113], v[144:145], v[9:10], -v[7:8]
	s_waitcnt lgkmcnt(12)
	v_mul_f64 v[7:8], v[126:127], v[62:63]
	v_fma_f64 v[114:115], v[124:125], v[60:61], v[7:8]
	v_mul_f64 v[7:8], v[126:127], v[60:61]
	v_add_f64 v[9:10], v[4:5], v[114:115]
	v_fma_f64 v[62:63], v[124:125], v[62:63], -v[7:8]
	s_waitcnt lgkmcnt(10)
	v_mul_f64 v[7:8], v[154:155], v[70:71]
	v_fma_f64 v[9:10], v[9:10], -0.5, v[0:1]
	v_add_f64 v[60:61], v[112:113], -v[62:63]
	v_fma_f64 v[116:117], v[152:153], v[68:69], v[7:8]
	v_mul_f64 v[7:8], v[154:155], v[68:69]
	v_fma_f64 v[118:119], v[152:153], v[70:71], -v[7:8]
	s_waitcnt lgkmcnt(9)
	v_mul_f64 v[7:8], v[150:151], v[74:75]
	v_fma_f64 v[120:121], v[148:149], v[72:73], v[7:8]
	v_mul_f64 v[7:8], v[150:151], v[72:73]
	v_fma_f64 v[74:75], v[148:149], v[74:75], -v[7:8]
	s_waitcnt lgkmcnt(7)
	v_mul_f64 v[7:8], v[162:163], v[82:83]
	v_add_f64 v[70:71], v[118:119], -v[74:75]
	v_fma_f64 v[122:123], v[160:161], v[80:81], v[7:8]
	v_mul_f64 v[7:8], v[162:163], v[80:81]
	v_fma_f64 v[124:125], v[160:161], v[82:83], -v[7:8]
	s_waitcnt lgkmcnt(6)
	v_mul_f64 v[7:8], v[158:159], v[86:87]
	v_fma_f64 v[126:127], v[156:157], v[84:85], v[7:8]
	v_mul_f64 v[7:8], v[158:159], v[84:85]
	v_fma_f64 v[86:87], v[156:157], v[86:87], -v[7:8]
	s_waitcnt lgkmcnt(4)
	v_mul_f64 v[7:8], v[170:171], v[94:95]
	;; [unrolled: 11-line block ×3, first 2 shown]
	v_add_f64 v[94:95], v[130:131], -v[98:99]
	v_fma_f64 v[134:135], v[176:177], v[104:105], v[7:8]
	v_mul_f64 v[7:8], v[178:179], v[104:105]
	v_fma_f64 v[136:137], v[176:177], v[106:107], -v[7:8]
	s_waitcnt lgkmcnt(0)
	v_mul_f64 v[7:8], v[174:175], v[110:111]
	v_fma_f64 v[138:139], v[172:173], v[108:109], v[7:8]
	v_mul_f64 v[7:8], v[174:175], v[108:109]
	v_fma_f64 v[110:111], v[172:173], v[110:111], -v[7:8]
	v_add_f64 v[7:8], v[0:1], v[4:5]
	v_fma_f64 v[0:1], v[60:61], s[10:11], v[9:10]
	v_fma_f64 v[60:61], v[60:61], s[16:17], v[9:10]
	v_add_f64 v[9:10], v[2:3], v[112:113]
	v_add_f64 v[4:5], v[4:5], -v[114:115]
	v_add_f64 v[106:107], v[136:137], -v[110:111]
	v_add_f64 v[7:8], v[7:8], v[114:115]
	v_add_f64 v[9:10], v[9:10], v[62:63]
	;; [unrolled: 1-line block ×3, first 2 shown]
	v_fma_f64 v[62:63], v[62:63], -0.5, v[2:3]
	v_fma_f64 v[2:3], v[4:5], s[16:17], v[62:63]
	v_fma_f64 v[62:63], v[4:5], s[10:11], v[62:63]
	v_add_f64 v[4:5], v[64:65], v[116:117]
	v_add_f64 v[68:69], v[4:5], v[120:121]
	v_add_f64 v[4:5], v[116:117], v[120:121]
	v_fma_f64 v[4:5], v[4:5], -0.5, v[64:65]
	v_fma_f64 v[64:65], v[70:71], s[10:11], v[4:5]
	v_fma_f64 v[72:73], v[70:71], s[16:17], v[4:5]
	v_add_f64 v[4:5], v[66:67], v[118:119]
	v_add_f64 v[70:71], v[4:5], v[74:75]
	v_add_f64 v[4:5], v[118:119], v[74:75]
	v_add_f64 v[74:75], v[116:117], -v[120:121]
	v_fma_f64 v[4:5], v[4:5], -0.5, v[66:67]
	v_fma_f64 v[66:67], v[74:75], s[16:17], v[4:5]
	v_fma_f64 v[74:75], v[74:75], s[10:11], v[4:5]
	v_add_f64 v[4:5], v[76:77], v[122:123]
	v_add_f64 v[80:81], v[4:5], v[126:127]
	v_add_f64 v[4:5], v[122:123], v[126:127]
	v_fma_f64 v[4:5], v[4:5], -0.5, v[76:77]
	v_fma_f64 v[76:77], v[82:83], s[10:11], v[4:5]
	v_fma_f64 v[84:85], v[82:83], s[16:17], v[4:5]
	v_add_f64 v[4:5], v[78:79], v[124:125]
	v_add_f64 v[82:83], v[4:5], v[86:87]
	v_add_f64 v[4:5], v[124:125], v[86:87]
	v_add_f64 v[86:87], v[122:123], -v[126:127]
	;; [unrolled: 13-line block ×4, first 2 shown]
	v_fma_f64 v[4:5], v[4:5], -0.5, v[102:103]
	v_fma_f64 v[102:103], v[110:111], s[16:17], v[4:5]
	v_fma_f64 v[110:111], v[110:111], s[10:11], v[4:5]
	ds_write_b128 v6, v[7:10]
	ds_write_b128 v6, v[0:3] offset:2000
	ds_write_b128 v6, v[60:63] offset:4000
	;; [unrolled: 1-line block ×14, first 2 shown]
	s_waitcnt lgkmcnt(0)
	s_barrier
	ds_read_b128 v[0:3], v6
	s_waitcnt lgkmcnt(0)
	v_mul_f64 v[4:5], v[42:43], v[2:3]
	v_fma_f64 v[4:5], v[40:41], v[0:1], v[4:5]
	v_mul_f64 v[0:1], v[42:43], v[0:1]
	v_mul_f64 v[7:8], v[4:5], s[2:3]
	v_fma_f64 v[0:1], v[40:41], v[2:3], -v[0:1]
	v_mov_b32_e32 v4, s13
	v_mul_f64 v[9:10], v[0:1], s[2:3]
	v_mad_u64_u32 v[0:1], s[4:5], s0, v254, 0
	v_mad_u64_u32 v[1:2], s[4:5], s1, v254, v[1:2]
	buffer_load_dword v2, off, s[20:23], 0 offset:48 ; 4-byte Folded Reload
	buffer_load_dword v3, off, s[20:23], 0 offset:52 ; 4-byte Folded Reload
	s_mul_i32 s4, s1, 0x4b0
	v_lshlrev_b64 v[0:1], 4, v[0:1]
	s_mul_hi_u32 s5, s0, 0x4b0
	s_add_i32 s4, s5, s4
	s_mul_i32 s5, s0, 0x4b0
	s_mulk_i32 s1, 0xeed0
	s_sub_i32 s1, s1, s0
	s_waitcnt vmcnt(0)
	v_lshlrev_b64 v[2:3], 4, v[2:3]
	v_add_co_u32_e32 v2, vcc, s12, v2
	v_addc_co_u32_e32 v3, vcc, v4, v3, vcc
	v_add_co_u32_e32 v4, vcc, v2, v0
	v_addc_co_u32_e32 v5, vcc, v3, v1, vcc
	ds_read_b128 v[0:3], v6 offset:1200
	global_store_dwordx4 v[4:5], v[7:10], off
	v_add_co_u32_e32 v4, vcc, s5, v4
	s_waitcnt lgkmcnt(0)
	v_mul_f64 v[7:8], v[46:47], v[2:3]
	v_fma_f64 v[7:8], v[44:45], v[0:1], v[7:8]
	v_mul_f64 v[0:1], v[46:47], v[0:1]
	v_mul_f64 v[7:8], v[7:8], s[2:3]
	v_fma_f64 v[0:1], v[44:45], v[2:3], -v[0:1]
	v_mul_f64 v[9:10], v[0:1], s[2:3]
	v_mov_b32_e32 v0, s4
	v_addc_co_u32_e32 v5, vcc, v5, v0, vcc
	ds_read_b128 v[0:3], v6 offset:2400
	global_store_dwordx4 v[4:5], v[7:10], off
	s_waitcnt lgkmcnt(0)
	v_mul_f64 v[7:8], v[50:51], v[2:3]
	v_add_co_u32_e32 v4, vcc, s5, v4
	v_fma_f64 v[7:8], v[48:49], v[0:1], v[7:8]
	v_mul_f64 v[0:1], v[50:51], v[0:1]
	v_mul_f64 v[7:8], v[7:8], s[2:3]
	v_fma_f64 v[0:1], v[48:49], v[2:3], -v[0:1]
	v_mul_f64 v[9:10], v[0:1], s[2:3]
	v_mov_b32_e32 v0, s4
	v_addc_co_u32_e32 v5, vcc, v5, v0, vcc
	ds_read_b128 v[0:3], v6 offset:3600
	global_store_dwordx4 v[4:5], v[7:10], off
	s_waitcnt lgkmcnt(0)
	v_mul_f64 v[7:8], v[54:55], v[2:3]
	v_add_co_u32_e32 v4, vcc, s5, v4
	;; [unrolled: 12-line block ×3, first 2 shown]
	v_fma_f64 v[7:8], v[56:57], v[0:1], v[7:8]
	v_mul_f64 v[0:1], v[58:59], v[0:1]
	v_mul_f64 v[7:8], v[7:8], s[2:3]
	v_fma_f64 v[0:1], v[56:57], v[2:3], -v[0:1]
	v_mul_f64 v[9:10], v[0:1], s[2:3]
	v_mov_b32_e32 v0, s4
	v_addc_co_u32_e32 v5, vcc, v5, v0, vcc
	ds_read_b128 v[0:3], v6 offset:400
	global_store_dwordx4 v[4:5], v[7:10], off
	s_waitcnt lgkmcnt(0)
	v_mul_f64 v[7:8], v[22:23], v[2:3]
	v_mad_u64_u32 v[4:5], s[6:7], s0, v11, v[4:5]
	v_add_u32_e32 v5, s1, v5
	v_fma_f64 v[7:8], v[20:21], v[0:1], v[7:8]
	v_mul_f64 v[0:1], v[22:23], v[0:1]
	v_mul_f64 v[7:8], v[7:8], s[2:3]
	v_fma_f64 v[0:1], v[20:21], v[2:3], -v[0:1]
	v_mul_f64 v[9:10], v[0:1], s[2:3]
	ds_read_b128 v[0:3], v6 offset:1600
	global_store_dwordx4 v[4:5], v[7:10], off
	s_waitcnt lgkmcnt(0)
	v_mul_f64 v[7:8], v[26:27], v[2:3]
	v_add_co_u32_e32 v4, vcc, s5, v4
	v_fma_f64 v[7:8], v[24:25], v[0:1], v[7:8]
	v_mul_f64 v[0:1], v[26:27], v[0:1]
	v_mul_f64 v[7:8], v[7:8], s[2:3]
	v_fma_f64 v[0:1], v[24:25], v[2:3], -v[0:1]
	v_mul_f64 v[9:10], v[0:1], s[2:3]
	v_mov_b32_e32 v0, s4
	v_addc_co_u32_e32 v5, vcc, v5, v0, vcc
	ds_read_b128 v[0:3], v6 offset:2800
	global_store_dwordx4 v[4:5], v[7:10], off
	s_waitcnt lgkmcnt(0)
	v_mul_f64 v[7:8], v[30:31], v[2:3]
	v_add_co_u32_e32 v4, vcc, s5, v4
	v_fma_f64 v[7:8], v[28:29], v[0:1], v[7:8]
	v_mul_f64 v[0:1], v[30:31], v[0:1]
	v_mul_f64 v[7:8], v[7:8], s[2:3]
	v_fma_f64 v[0:1], v[28:29], v[2:3], -v[0:1]
	v_mul_f64 v[9:10], v[0:1], s[2:3]
	v_mov_b32_e32 v0, s4
	v_addc_co_u32_e32 v5, vcc, v5, v0, vcc
	;; [unrolled: 12-line block ×4, first 2 shown]
	ds_read_b128 v[0:3], v6 offset:800
	global_store_dwordx4 v[4:5], v[7:10], off
	s_waitcnt lgkmcnt(0)
	v_mul_f64 v[7:8], v[14:15], v[2:3]
	v_mad_u64_u32 v[4:5], s[6:7], s0, v11, v[4:5]
	v_add_u32_e32 v5, s1, v5
	v_fma_f64 v[7:8], v[12:13], v[0:1], v[7:8]
	v_mul_f64 v[0:1], v[14:15], v[0:1]
	v_mul_f64 v[7:8], v[7:8], s[2:3]
	v_fma_f64 v[0:1], v[12:13], v[2:3], -v[0:1]
	v_mul_f64 v[9:10], v[0:1], s[2:3]
	ds_read_b128 v[0:3], v6 offset:2000
	global_store_dwordx4 v[4:5], v[7:10], off
	s_waitcnt lgkmcnt(0)
	v_mul_f64 v[7:8], v[18:19], v[2:3]
	v_add_co_u32_e32 v4, vcc, s5, v4
	v_fma_f64 v[7:8], v[16:17], v[0:1], v[7:8]
	v_mul_f64 v[0:1], v[18:19], v[0:1]
	v_mul_f64 v[7:8], v[7:8], s[2:3]
	v_fma_f64 v[0:1], v[16:17], v[2:3], -v[0:1]
	v_mul_f64 v[9:10], v[0:1], s[2:3]
	v_mov_b32_e32 v0, s4
	v_addc_co_u32_e32 v5, vcc, v5, v0, vcc
	ds_read_b128 v[0:3], v6 offset:3200
	global_store_dwordx4 v[4:5], v[7:10], off
	buffer_load_dword v9, off, s[20:23], 0 offset:16 ; 4-byte Folded Reload
	s_nop 0
	buffer_load_dword v10, off, s[20:23], 0 offset:20 ; 4-byte Folded Reload
	buffer_load_dword v11, off, s[20:23], 0 offset:24 ; 4-byte Folded Reload
	;; [unrolled: 1-line block ×3, first 2 shown]
	v_add_co_u32_e32 v4, vcc, s5, v4
	s_waitcnt vmcnt(0) lgkmcnt(0)
	v_mul_f64 v[7:8], v[11:12], v[2:3]
	v_fma_f64 v[7:8], v[9:10], v[0:1], v[7:8]
	v_mul_f64 v[0:1], v[11:12], v[0:1]
	v_mul_f64 v[7:8], v[7:8], s[2:3]
	v_fma_f64 v[0:1], v[9:10], v[2:3], -v[0:1]
	v_mul_f64 v[9:10], v[0:1], s[2:3]
	v_mov_b32_e32 v0, s4
	v_addc_co_u32_e32 v5, vcc, v5, v0, vcc
	ds_read_b128 v[0:3], v6 offset:4400
	global_store_dwordx4 v[4:5], v[7:10], off
	buffer_load_dword v9, off, s[20:23], 0  ; 4-byte Folded Reload
	s_nop 0
	buffer_load_dword v10, off, s[20:23], 0 offset:4 ; 4-byte Folded Reload
	buffer_load_dword v11, off, s[20:23], 0 offset:8 ; 4-byte Folded Reload
	buffer_load_dword v12, off, s[20:23], 0 offset:12 ; 4-byte Folded Reload
	s_waitcnt vmcnt(0) lgkmcnt(0)
	v_mul_f64 v[7:8], v[11:12], v[2:3]
	v_fma_f64 v[7:8], v[9:10], v[0:1], v[7:8]
	v_mul_f64 v[0:1], v[11:12], v[0:1]
	v_add_co_u32_e32 v11, vcc, s5, v4
	v_mul_f64 v[7:8], v[7:8], s[2:3]
	v_fma_f64 v[0:1], v[9:10], v[2:3], -v[0:1]
	v_mul_f64 v[9:10], v[0:1], s[2:3]
	v_mov_b32_e32 v0, s4
	v_addc_co_u32_e32 v12, vcc, v5, v0, vcc
	ds_read_b128 v[0:3], v6 offset:5600
	global_store_dwordx4 v[11:12], v[7:10], off
	buffer_load_dword v6, off, s[20:23], 0 offset:32 ; 4-byte Folded Reload
	s_nop 0
	buffer_load_dword v7, off, s[20:23], 0 offset:36 ; 4-byte Folded Reload
	buffer_load_dword v8, off, s[20:23], 0 offset:40 ; 4-byte Folded Reload
	;; [unrolled: 1-line block ×3, first 2 shown]
	s_waitcnt vmcnt(0) lgkmcnt(0)
	v_mul_f64 v[4:5], v[8:9], v[2:3]
	v_fma_f64 v[4:5], v[6:7], v[0:1], v[4:5]
	v_mul_f64 v[0:1], v[8:9], v[0:1]
	v_mul_f64 v[4:5], v[4:5], s[2:3]
	v_fma_f64 v[0:1], v[6:7], v[2:3], -v[0:1]
	v_mul_f64 v[6:7], v[0:1], s[2:3]
	v_add_co_u32_e32 v0, vcc, s5, v11
	v_mov_b32_e32 v1, s4
	v_addc_co_u32_e32 v1, vcc, v12, v1, vcc
	global_store_dwordx4 v[0:1], v[4:7], off
.LBB0_2:
	s_endpgm
	.section	.rodata,"a",@progbits
	.p2align	6, 0x0
	.amdhsa_kernel bluestein_single_fwd_len375_dim1_dp_op_CI_CI
		.amdhsa_group_segment_fixed_size 30000
		.amdhsa_private_segment_fixed_size 60
		.amdhsa_kernarg_size 104
		.amdhsa_user_sgpr_count 6
		.amdhsa_user_sgpr_private_segment_buffer 1
		.amdhsa_user_sgpr_dispatch_ptr 0
		.amdhsa_user_sgpr_queue_ptr 0
		.amdhsa_user_sgpr_kernarg_segment_ptr 1
		.amdhsa_user_sgpr_dispatch_id 0
		.amdhsa_user_sgpr_flat_scratch_init 0
		.amdhsa_user_sgpr_private_segment_size 0
		.amdhsa_uses_dynamic_stack 0
		.amdhsa_system_sgpr_private_segment_wavefront_offset 1
		.amdhsa_system_sgpr_workgroup_id_x 1
		.amdhsa_system_sgpr_workgroup_id_y 0
		.amdhsa_system_sgpr_workgroup_id_z 0
		.amdhsa_system_sgpr_workgroup_info 0
		.amdhsa_system_vgpr_workitem_id 0
		.amdhsa_next_free_vgpr 256
		.amdhsa_next_free_sgpr 24
		.amdhsa_reserve_vcc 1
		.amdhsa_reserve_flat_scratch 0
		.amdhsa_float_round_mode_32 0
		.amdhsa_float_round_mode_16_64 0
		.amdhsa_float_denorm_mode_32 3
		.amdhsa_float_denorm_mode_16_64 3
		.amdhsa_dx10_clamp 1
		.amdhsa_ieee_mode 1
		.amdhsa_fp16_overflow 0
		.amdhsa_exception_fp_ieee_invalid_op 0
		.amdhsa_exception_fp_denorm_src 0
		.amdhsa_exception_fp_ieee_div_zero 0
		.amdhsa_exception_fp_ieee_overflow 0
		.amdhsa_exception_fp_ieee_underflow 0
		.amdhsa_exception_fp_ieee_inexact 0
		.amdhsa_exception_int_div_zero 0
	.end_amdhsa_kernel
	.text
.Lfunc_end0:
	.size	bluestein_single_fwd_len375_dim1_dp_op_CI_CI, .Lfunc_end0-bluestein_single_fwd_len375_dim1_dp_op_CI_CI
                                        ; -- End function
	.section	.AMDGPU.csdata,"",@progbits
; Kernel info:
; codeLenInByte = 18108
; NumSgprs: 28
; NumVgprs: 256
; ScratchSize: 60
; MemoryBound: 0
; FloatMode: 240
; IeeeMode: 1
; LDSByteSize: 30000 bytes/workgroup (compile time only)
; SGPRBlocks: 3
; VGPRBlocks: 63
; NumSGPRsForWavesPerEU: 28
; NumVGPRsForWavesPerEU: 256
; Occupancy: 1
; WaveLimiterHint : 1
; COMPUTE_PGM_RSRC2:SCRATCH_EN: 1
; COMPUTE_PGM_RSRC2:USER_SGPR: 6
; COMPUTE_PGM_RSRC2:TRAP_HANDLER: 0
; COMPUTE_PGM_RSRC2:TGID_X_EN: 1
; COMPUTE_PGM_RSRC2:TGID_Y_EN: 0
; COMPUTE_PGM_RSRC2:TGID_Z_EN: 0
; COMPUTE_PGM_RSRC2:TIDIG_COMP_CNT: 0
	.type	__hip_cuid_599a66e38d357b84,@object ; @__hip_cuid_599a66e38d357b84
	.section	.bss,"aw",@nobits
	.globl	__hip_cuid_599a66e38d357b84
__hip_cuid_599a66e38d357b84:
	.byte	0                               ; 0x0
	.size	__hip_cuid_599a66e38d357b84, 1

	.ident	"AMD clang version 19.0.0git (https://github.com/RadeonOpenCompute/llvm-project roc-6.4.0 25133 c7fe45cf4b819c5991fe208aaa96edf142730f1d)"
	.section	".note.GNU-stack","",@progbits
	.addrsig
	.addrsig_sym __hip_cuid_599a66e38d357b84
	.amdgpu_metadata
---
amdhsa.kernels:
  - .args:
      - .actual_access:  read_only
        .address_space:  global
        .offset:         0
        .size:           8
        .value_kind:     global_buffer
      - .actual_access:  read_only
        .address_space:  global
        .offset:         8
        .size:           8
        .value_kind:     global_buffer
      - .actual_access:  read_only
        .address_space:  global
        .offset:         16
        .size:           8
        .value_kind:     global_buffer
      - .actual_access:  read_only
        .address_space:  global
        .offset:         24
        .size:           8
        .value_kind:     global_buffer
      - .actual_access:  read_only
        .address_space:  global
        .offset:         32
        .size:           8
        .value_kind:     global_buffer
      - .offset:         40
        .size:           8
        .value_kind:     by_value
      - .address_space:  global
        .offset:         48
        .size:           8
        .value_kind:     global_buffer
      - .address_space:  global
        .offset:         56
        .size:           8
        .value_kind:     global_buffer
      - .address_space:  global
        .offset:         64
        .size:           8
        .value_kind:     global_buffer
      - .address_space:  global
        .offset:         72
        .size:           8
        .value_kind:     global_buffer
      - .offset:         80
        .size:           4
        .value_kind:     by_value
      - .address_space:  global
        .offset:         88
        .size:           8
        .value_kind:     global_buffer
      - .address_space:  global
        .offset:         96
        .size:           8
        .value_kind:     global_buffer
    .group_segment_fixed_size: 30000
    .kernarg_segment_align: 8
    .kernarg_segment_size: 104
    .language:       OpenCL C
    .language_version:
      - 2
      - 0
    .max_flat_workgroup_size: 125
    .name:           bluestein_single_fwd_len375_dim1_dp_op_CI_CI
    .private_segment_fixed_size: 60
    .sgpr_count:     28
    .sgpr_spill_count: 0
    .symbol:         bluestein_single_fwd_len375_dim1_dp_op_CI_CI.kd
    .uniform_work_group_size: 1
    .uses_dynamic_stack: false
    .vgpr_count:     256
    .vgpr_spill_count: 14
    .wavefront_size: 64
amdhsa.target:   amdgcn-amd-amdhsa--gfx906
amdhsa.version:
  - 1
  - 2
...

	.end_amdgpu_metadata
